;; amdgpu-corpus repo=ROCm/rocFFT kind=compiled arch=gfx1201 opt=O3
	.text
	.amdgcn_target "amdgcn-amd-amdhsa--gfx1201"
	.amdhsa_code_object_version 6
	.protected	fft_rtc_fwd_len2401_factors_7_7_7_7_wgs_49_tpt_49_halfLds_sp_ip_CI_unitstride_sbrr_dirReg ; -- Begin function fft_rtc_fwd_len2401_factors_7_7_7_7_wgs_49_tpt_49_halfLds_sp_ip_CI_unitstride_sbrr_dirReg
	.globl	fft_rtc_fwd_len2401_factors_7_7_7_7_wgs_49_tpt_49_halfLds_sp_ip_CI_unitstride_sbrr_dirReg
	.p2align	8
	.type	fft_rtc_fwd_len2401_factors_7_7_7_7_wgs_49_tpt_49_halfLds_sp_ip_CI_unitstride_sbrr_dirReg,@function
fft_rtc_fwd_len2401_factors_7_7_7_7_wgs_49_tpt_49_halfLds_sp_ip_CI_unitstride_sbrr_dirReg: ; @fft_rtc_fwd_len2401_factors_7_7_7_7_wgs_49_tpt_49_halfLds_sp_ip_CI_unitstride_sbrr_dirReg
; %bb.0:
	s_clause 0x2
	s_load_b128 s[4:7], s[0:1], 0x0
	s_load_b64 s[8:9], s[0:1], 0x50
	s_load_b64 s[10:11], s[0:1], 0x18
	v_mul_u32_u24_e32 v1, 0x53a, v0
	v_mov_b32_e32 v3, 0
	s_delay_alu instid0(VALU_DEP_2) | instskip(NEXT) | instid1(VALU_DEP_1)
	v_lshrrev_b32_e32 v1, 16, v1
	v_add_nc_u32_e32 v5, ttmp9, v1
	v_mov_b32_e32 v1, 0
	v_mov_b32_e32 v2, 0
	;; [unrolled: 1-line block ×3, first 2 shown]
	s_wait_kmcnt 0x0
	v_cmp_lt_u64_e64 s2, s[6:7], 2
	s_delay_alu instid0(VALU_DEP_1)
	s_and_b32 vcc_lo, exec_lo, s2
	s_cbranch_vccnz .LBB0_8
; %bb.1:
	s_load_b64 s[2:3], s[0:1], 0x10
	v_mov_b32_e32 v1, 0
	v_mov_b32_e32 v2, 0
	s_add_nc_u64 s[12:13], s[10:11], 8
	s_mov_b64 s[14:15], 1
	s_wait_kmcnt 0x0
	s_add_nc_u64 s[16:17], s[2:3], 8
	s_mov_b32 s3, 0
.LBB0_2:                                ; =>This Inner Loop Header: Depth=1
	s_load_b64 s[18:19], s[16:17], 0x0
                                        ; implicit-def: $vgpr8_vgpr9
	s_mov_b32 s2, exec_lo
	s_wait_kmcnt 0x0
	v_or_b32_e32 v4, s19, v6
	s_delay_alu instid0(VALU_DEP_1)
	v_cmpx_ne_u64_e32 0, v[3:4]
	s_wait_alu 0xfffe
	s_xor_b32 s20, exec_lo, s2
	s_cbranch_execz .LBB0_4
; %bb.3:                                ;   in Loop: Header=BB0_2 Depth=1
	s_cvt_f32_u32 s2, s18
	s_cvt_f32_u32 s21, s19
	s_sub_nc_u64 s[24:25], 0, s[18:19]
	s_wait_alu 0xfffe
	s_delay_alu instid0(SALU_CYCLE_1) | instskip(SKIP_1) | instid1(SALU_CYCLE_2)
	s_fmamk_f32 s2, s21, 0x4f800000, s2
	s_wait_alu 0xfffe
	v_s_rcp_f32 s2, s2
	s_delay_alu instid0(TRANS32_DEP_1) | instskip(SKIP_1) | instid1(SALU_CYCLE_2)
	s_mul_f32 s2, s2, 0x5f7ffffc
	s_wait_alu 0xfffe
	s_mul_f32 s21, s2, 0x2f800000
	s_wait_alu 0xfffe
	s_delay_alu instid0(SALU_CYCLE_2) | instskip(SKIP_1) | instid1(SALU_CYCLE_2)
	s_trunc_f32 s21, s21
	s_wait_alu 0xfffe
	s_fmamk_f32 s2, s21, 0xcf800000, s2
	s_cvt_u32_f32 s23, s21
	s_wait_alu 0xfffe
	s_delay_alu instid0(SALU_CYCLE_1) | instskip(SKIP_1) | instid1(SALU_CYCLE_2)
	s_cvt_u32_f32 s22, s2
	s_wait_alu 0xfffe
	s_mul_u64 s[26:27], s[24:25], s[22:23]
	s_wait_alu 0xfffe
	s_mul_hi_u32 s29, s22, s27
	s_mul_i32 s28, s22, s27
	s_mul_hi_u32 s2, s22, s26
	s_mul_i32 s30, s23, s26
	s_wait_alu 0xfffe
	s_add_nc_u64 s[28:29], s[2:3], s[28:29]
	s_mul_hi_u32 s21, s23, s26
	s_mul_hi_u32 s31, s23, s27
	s_add_co_u32 s2, s28, s30
	s_wait_alu 0xfffe
	s_add_co_ci_u32 s2, s29, s21
	s_mul_i32 s26, s23, s27
	s_add_co_ci_u32 s27, s31, 0
	s_wait_alu 0xfffe
	s_add_nc_u64 s[26:27], s[2:3], s[26:27]
	s_wait_alu 0xfffe
	v_add_co_u32 v4, s2, s22, s26
	s_delay_alu instid0(VALU_DEP_1) | instskip(SKIP_1) | instid1(VALU_DEP_1)
	s_cmp_lg_u32 s2, 0
	s_add_co_ci_u32 s23, s23, s27
	v_readfirstlane_b32 s22, v4
	s_wait_alu 0xfffe
	s_delay_alu instid0(VALU_DEP_1)
	s_mul_u64 s[24:25], s[24:25], s[22:23]
	s_wait_alu 0xfffe
	s_mul_hi_u32 s27, s22, s25
	s_mul_i32 s26, s22, s25
	s_mul_hi_u32 s2, s22, s24
	s_mul_i32 s28, s23, s24
	s_wait_alu 0xfffe
	s_add_nc_u64 s[26:27], s[2:3], s[26:27]
	s_mul_hi_u32 s21, s23, s24
	s_mul_hi_u32 s22, s23, s25
	s_wait_alu 0xfffe
	s_add_co_u32 s2, s26, s28
	s_add_co_ci_u32 s2, s27, s21
	s_mul_i32 s24, s23, s25
	s_add_co_ci_u32 s25, s22, 0
	s_wait_alu 0xfffe
	s_add_nc_u64 s[24:25], s[2:3], s[24:25]
	s_wait_alu 0xfffe
	v_add_co_u32 v4, s2, v4, s24
	s_delay_alu instid0(VALU_DEP_1) | instskip(SKIP_1) | instid1(VALU_DEP_1)
	s_cmp_lg_u32 s2, 0
	s_add_co_ci_u32 s2, s23, s25
	v_mul_hi_u32 v13, v5, v4
	s_wait_alu 0xfffe
	v_mad_co_u64_u32 v[7:8], null, v5, s2, 0
	v_mad_co_u64_u32 v[9:10], null, v6, v4, 0
	;; [unrolled: 1-line block ×3, first 2 shown]
	s_delay_alu instid0(VALU_DEP_3) | instskip(SKIP_1) | instid1(VALU_DEP_4)
	v_add_co_u32 v4, vcc_lo, v13, v7
	s_wait_alu 0xfffd
	v_add_co_ci_u32_e32 v7, vcc_lo, 0, v8, vcc_lo
	s_delay_alu instid0(VALU_DEP_2) | instskip(SKIP_1) | instid1(VALU_DEP_2)
	v_add_co_u32 v4, vcc_lo, v4, v9
	s_wait_alu 0xfffd
	v_add_co_ci_u32_e32 v4, vcc_lo, v7, v10, vcc_lo
	s_wait_alu 0xfffd
	v_add_co_ci_u32_e32 v7, vcc_lo, 0, v12, vcc_lo
	s_delay_alu instid0(VALU_DEP_2) | instskip(SKIP_1) | instid1(VALU_DEP_2)
	v_add_co_u32 v4, vcc_lo, v4, v11
	s_wait_alu 0xfffd
	v_add_co_ci_u32_e32 v9, vcc_lo, 0, v7, vcc_lo
	s_delay_alu instid0(VALU_DEP_2) | instskip(SKIP_1) | instid1(VALU_DEP_3)
	v_mul_lo_u32 v10, s19, v4
	v_mad_co_u64_u32 v[7:8], null, s18, v4, 0
	v_mul_lo_u32 v11, s18, v9
	s_delay_alu instid0(VALU_DEP_2) | instskip(NEXT) | instid1(VALU_DEP_2)
	v_sub_co_u32 v7, vcc_lo, v5, v7
	v_add3_u32 v8, v8, v11, v10
	s_delay_alu instid0(VALU_DEP_1) | instskip(SKIP_1) | instid1(VALU_DEP_1)
	v_sub_nc_u32_e32 v10, v6, v8
	s_wait_alu 0xfffd
	v_subrev_co_ci_u32_e64 v10, s2, s19, v10, vcc_lo
	v_add_co_u32 v11, s2, v4, 2
	s_wait_alu 0xf1ff
	v_add_co_ci_u32_e64 v12, s2, 0, v9, s2
	v_sub_co_u32 v13, s2, v7, s18
	v_sub_co_ci_u32_e32 v8, vcc_lo, v6, v8, vcc_lo
	s_wait_alu 0xf1ff
	v_subrev_co_ci_u32_e64 v10, s2, 0, v10, s2
	s_delay_alu instid0(VALU_DEP_3) | instskip(NEXT) | instid1(VALU_DEP_3)
	v_cmp_le_u32_e32 vcc_lo, s18, v13
	v_cmp_eq_u32_e64 s2, s19, v8
	s_wait_alu 0xfffd
	v_cndmask_b32_e64 v13, 0, -1, vcc_lo
	v_cmp_le_u32_e32 vcc_lo, s19, v10
	s_wait_alu 0xfffd
	v_cndmask_b32_e64 v14, 0, -1, vcc_lo
	v_cmp_le_u32_e32 vcc_lo, s18, v7
	;; [unrolled: 3-line block ×3, first 2 shown]
	s_wait_alu 0xfffd
	v_cndmask_b32_e64 v15, 0, -1, vcc_lo
	v_cmp_eq_u32_e32 vcc_lo, s19, v10
	s_wait_alu 0xf1ff
	s_delay_alu instid0(VALU_DEP_2)
	v_cndmask_b32_e64 v7, v15, v7, s2
	s_wait_alu 0xfffd
	v_cndmask_b32_e32 v10, v14, v13, vcc_lo
	v_add_co_u32 v13, vcc_lo, v4, 1
	s_wait_alu 0xfffd
	v_add_co_ci_u32_e32 v14, vcc_lo, 0, v9, vcc_lo
	s_delay_alu instid0(VALU_DEP_3) | instskip(SKIP_1) | instid1(VALU_DEP_2)
	v_cmp_ne_u32_e32 vcc_lo, 0, v10
	s_wait_alu 0xfffd
	v_cndmask_b32_e32 v8, v14, v12, vcc_lo
	v_cndmask_b32_e32 v10, v13, v11, vcc_lo
	v_cmp_ne_u32_e32 vcc_lo, 0, v7
	s_wait_alu 0xfffd
	s_delay_alu instid0(VALU_DEP_2)
	v_dual_cndmask_b32 v9, v9, v8 :: v_dual_cndmask_b32 v8, v4, v10
.LBB0_4:                                ;   in Loop: Header=BB0_2 Depth=1
	s_wait_alu 0xfffe
	s_and_not1_saveexec_b32 s2, s20
	s_cbranch_execz .LBB0_6
; %bb.5:                                ;   in Loop: Header=BB0_2 Depth=1
	v_cvt_f32_u32_e32 v4, s18
	s_sub_co_i32 s20, 0, s18
	s_delay_alu instid0(VALU_DEP_1) | instskip(NEXT) | instid1(TRANS32_DEP_1)
	v_rcp_iflag_f32_e32 v4, v4
	v_mul_f32_e32 v4, 0x4f7ffffe, v4
	s_delay_alu instid0(VALU_DEP_1) | instskip(SKIP_1) | instid1(VALU_DEP_1)
	v_cvt_u32_f32_e32 v4, v4
	s_wait_alu 0xfffe
	v_mul_lo_u32 v7, s20, v4
	s_delay_alu instid0(VALU_DEP_1) | instskip(NEXT) | instid1(VALU_DEP_1)
	v_mul_hi_u32 v7, v4, v7
	v_add_nc_u32_e32 v4, v4, v7
	s_delay_alu instid0(VALU_DEP_1) | instskip(NEXT) | instid1(VALU_DEP_1)
	v_mul_hi_u32 v4, v5, v4
	v_mul_lo_u32 v7, v4, s18
	v_add_nc_u32_e32 v8, 1, v4
	s_delay_alu instid0(VALU_DEP_2) | instskip(NEXT) | instid1(VALU_DEP_1)
	v_sub_nc_u32_e32 v7, v5, v7
	v_subrev_nc_u32_e32 v9, s18, v7
	v_cmp_le_u32_e32 vcc_lo, s18, v7
	s_wait_alu 0xfffd
	s_delay_alu instid0(VALU_DEP_2) | instskip(SKIP_1) | instid1(VALU_DEP_2)
	v_cndmask_b32_e32 v7, v7, v9, vcc_lo
	v_dual_mov_b32 v9, v3 :: v_dual_cndmask_b32 v4, v4, v8
	v_cmp_le_u32_e32 vcc_lo, s18, v7
	s_delay_alu instid0(VALU_DEP_2) | instskip(SKIP_1) | instid1(VALU_DEP_1)
	v_add_nc_u32_e32 v8, 1, v4
	s_wait_alu 0xfffd
	v_cndmask_b32_e32 v8, v4, v8, vcc_lo
.LBB0_6:                                ;   in Loop: Header=BB0_2 Depth=1
	s_wait_alu 0xfffe
	s_or_b32 exec_lo, exec_lo, s2
	s_load_b64 s[20:21], s[12:13], 0x0
	v_mul_lo_u32 v4, v9, s18
	v_mul_lo_u32 v7, v8, s19
	v_mad_co_u64_u32 v[10:11], null, v8, s18, 0
	s_add_nc_u64 s[14:15], s[14:15], 1
	s_add_nc_u64 s[12:13], s[12:13], 8
	s_wait_alu 0xfffe
	v_cmp_ge_u64_e64 s2, s[14:15], s[6:7]
	s_add_nc_u64 s[16:17], s[16:17], 8
	s_delay_alu instid0(VALU_DEP_2) | instskip(NEXT) | instid1(VALU_DEP_3)
	v_add3_u32 v4, v11, v7, v4
	v_sub_co_u32 v5, vcc_lo, v5, v10
	s_wait_alu 0xfffd
	s_delay_alu instid0(VALU_DEP_2) | instskip(SKIP_3) | instid1(VALU_DEP_2)
	v_sub_co_ci_u32_e32 v4, vcc_lo, v6, v4, vcc_lo
	s_and_b32 vcc_lo, exec_lo, s2
	s_wait_kmcnt 0x0
	v_mul_lo_u32 v6, s21, v5
	v_mul_lo_u32 v4, s20, v4
	v_mad_co_u64_u32 v[1:2], null, s20, v5, v[1:2]
	s_delay_alu instid0(VALU_DEP_1)
	v_add3_u32 v2, v6, v2, v4
	s_wait_alu 0xfffe
	s_cbranch_vccnz .LBB0_9
; %bb.7:                                ;   in Loop: Header=BB0_2 Depth=1
	v_dual_mov_b32 v5, v8 :: v_dual_mov_b32 v6, v9
	s_branch .LBB0_2
.LBB0_8:
	v_dual_mov_b32 v9, v6 :: v_dual_mov_b32 v8, v5
.LBB0_9:
	s_lshl_b64 s[2:3], s[6:7], 3
	v_mul_hi_u32 v3, 0x539782a, v0
	s_wait_alu 0xfffe
	s_add_nc_u64 s[2:3], s[10:11], s[2:3]
	v_mov_b32_e32 v90, 0
	s_load_b64 s[2:3], s[2:3], 0x0
	s_load_b64 s[0:1], s[0:1], 0x20
	v_mov_b32_e32 v91, 0
	s_delay_alu instid0(VALU_DEP_2) | instskip(SKIP_2) | instid1(VALU_DEP_4)
	v_mov_b32_e32 v84, v90
	v_mov_b32_e32 v6, v90
	;; [unrolled: 1-line block ×3, first 2 shown]
	v_dual_mov_b32 v86, v90 :: v_dual_mov_b32 v87, v91
	v_dual_mov_b32 v99, v91 :: v_dual_mov_b32 v98, v90
	v_mov_b32_e32 v85, v91
	v_mov_b32_e32 v7, v91
	v_dual_mov_b32 v83, v91 :: v_dual_mov_b32 v78, v90
	v_dual_mov_b32 v79, v91 :: v_dual_mov_b32 v74, v90
	;; [unrolled: 1-line block ×4, first 2 shown]
	v_mov_b32_e32 v73, v91
	s_wait_kmcnt 0x0
	v_mul_lo_u32 v12, s2, v9
	v_mul_lo_u32 v13, s3, v8
	v_mad_co_u64_u32 v[10:11], null, s2, v8, v[1:2]
	v_mul_u32_u24_e32 v1, 49, v3
	v_cmp_gt_u64_e32 vcc_lo, s[0:1], v[8:9]
	v_dual_mov_b32 v58, v90 :: v_dual_mov_b32 v59, v91
	v_dual_mov_b32 v50, v90 :: v_dual_mov_b32 v51, v91
	v_add3_u32 v11, v13, v11, v12
	v_dual_mov_b32 v56, v90 :: v_dual_mov_b32 v57, v91
	v_dual_mov_b32 v62, v90 :: v_dual_mov_b32 v63, v91
	s_delay_alu instid0(VALU_DEP_3)
	v_lshlrev_b64_e32 v[54:55], 3, v[10:11]
	v_dual_mov_b32 v36, v90 :: v_dual_mov_b32 v37, v91
	v_dual_mov_b32 v47, v90 :: v_dual_mov_b32 v48, v91
	;; [unrolled: 1-line block ×10, first 2 shown]
	v_sub_nc_u32_e32 v52, v0, v1
	v_dual_mov_b32 v14, v90 :: v_dual_mov_b32 v15, v91
	v_dual_mov_b32 v16, v90 :: v_dual_mov_b32 v17, v91
	;; [unrolled: 1-line block ×4, first 2 shown]
                                        ; implicit-def: $vgpr21
                                        ; implicit-def: $vgpr19
                                        ; implicit-def: $vgpr9
                                        ; implicit-def: $vgpr33
                                        ; implicit-def: $vgpr31
                                        ; implicit-def: $vgpr23
                                        ; implicit-def: $vgpr45
                                        ; implicit-def: $vgpr43
                                        ; implicit-def: $vgpr35
                                        ; implicit-def: $vgpr69
                                        ; implicit-def: $vgpr67
                                        ; implicit-def: $vgpr61
                                        ; implicit-def: $vgpr81
                                        ; implicit-def: $vgpr77
                                        ; implicit-def: $vgpr65
                                        ; implicit-def: $vgpr95
                                        ; implicit-def: $vgpr89
                                        ; implicit-def: $vgpr93
                                        ; implicit-def: $vgpr103
                                        ; implicit-def: $vgpr101
                                        ; implicit-def: $vgpr97
	s_and_saveexec_b32 s1, vcc_lo
; %bb.10:
	v_mov_b32_e32 v53, 0
	v_add_co_u32 v2, s0, s8, v54
	s_wait_alu 0xf1ff
	v_add_co_ci_u32_e64 v3, s0, s9, v55, s0
	s_delay_alu instid0(VALU_DEP_3) | instskip(NEXT) | instid1(VALU_DEP_1)
	v_lshlrev_b64_e32 v[0:1], 3, v[52:53]
	v_add_co_u32 v20, s0, v2, v0
	s_wait_alu 0xf1ff
	s_delay_alu instid0(VALU_DEP_2)
	v_add_co_ci_u32_e64 v21, s0, v3, v1, s0
	s_clause 0x1f
	global_load_b64 v[64:65], v[20:21], off offset:9016
	global_load_b64 v[6:7], v[20:21], off
	global_load_b64 v[74:75], v[20:21], off offset:392
	global_load_b64 v[50:51], v[20:21], off offset:784
	;; [unrolled: 1-line block ×30, first 2 shown]
	s_clause 0x10
	global_load_b64 v[0:1], v[20:21], off offset:2352
	global_load_b64 v[86:87], v[20:21], off offset:5880
	;; [unrolled: 1-line block ×17, first 2 shown]
; %bb.11:
	s_wait_alu 0xfffe
	s_or_b32 exec_lo, exec_lo, s1
	s_wait_loadcnt 0x2
	v_dual_add_f32 v46, v102, v90 :: v_dual_sub_f32 v49, v91, v103
	v_dual_add_f32 v104, v103, v91 :: v_dual_add_f32 v53, v100, v98
	v_sub_f32_e32 v90, v90, v102
	v_dual_add_f32 v102, v101, v99 :: v_dual_sub_f32 v91, v98, v100
	v_dual_add_f32 v98, v96, v84 :: v_dual_sub_f32 v99, v99, v101
	s_delay_alu instid0(VALU_DEP_4) | instskip(SKIP_2) | instid1(VALU_DEP_4)
	v_add_f32_e32 v101, v46, v53
	v_sub_f32_e32 v100, v85, v97
	v_sub_f32_e32 v103, v53, v46
	v_sub_f32_e32 v105, v46, v98
	s_delay_alu instid0(VALU_DEP_4) | instskip(NEXT) | instid1(VALU_DEP_4)
	v_dual_sub_f32 v53, v98, v53 :: v_dual_add_f32 v98, v101, v98
	v_dual_add_f32 v46, v99, v100 :: v_dual_sub_f32 v101, v100, v99
	v_dual_sub_f32 v100, v49, v100 :: v_dual_sub_f32 v99, v99, v49
	v_sub_f32_e32 v113, v36, v60
	s_delay_alu instid0(VALU_DEP_3) | instskip(SKIP_4) | instid1(VALU_DEP_4)
	v_add_f32_e32 v49, v49, v46
	v_add_f32_e32 v46, v98, v6
	v_mul_f32_e32 v6, 0x3d64c772, v53
	v_mul_f32_e32 v53, 0x3f4a47b2, v105
	v_add_f32_e32 v85, v97, v85
	v_dual_sub_f32 v111, v28, v34 :: v_dual_fmamk_f32 v98, v98, 0xbf955555, v46
	s_delay_alu instid0(VALU_DEP_4)
	v_fmamk_f32 v105, v105, 0x3f4a47b2, v6
	v_mul_f32_e32 v106, 0x3f5ff5aa, v99
	v_fma_f32 v53, 0xbf3bfb3b, v103, -v53
	v_mul_f32_e32 v101, 0xbf08b237, v101
	v_fma_f32 v6, 0x3f3bfb3b, v103, -v6
	s_wait_loadcnt 0x0
	v_sub_f32_e32 v118, v14, v20
	v_dual_add_f32 v120, v21, v15 :: v_dual_sub_f32 v119, v16, v18
	v_fmamk_f32 v103, v100, 0x3eae86e6, v101
	v_fma_f32 v100, 0xbeae86e6, v100, -v106
	v_add_f32_e32 v106, v53, v98
	v_fma_f32 v99, 0x3f5ff5aa, v99, -v101
	v_add_f32_e32 v101, v105, v98
	s_delay_alu instid0(VALU_DEP_4) | instskip(NEXT) | instid1(VALU_DEP_3)
	v_dual_add_f32 v105, v6, v98 :: v_dual_fmac_f32 v100, 0x3ee1c552, v49
	v_dual_sub_f32 v6, v84, v96 :: v_dual_fmac_f32 v99, 0x3ee1c552, v49
	v_add_f32_e32 v84, v94, v82
	v_sub_f32_e32 v82, v82, v94
	v_add_f32_e32 v96, v95, v83
	v_add_f32_e32 v94, v88, v86
	v_dual_add_f32 v98, v105, v99 :: v_dual_fmac_f32 v103, 0x3ee1c552, v49
	v_add_f32_e32 v53, v106, v100
	v_dual_sub_f32 v97, v105, v99 :: v_dual_sub_f32 v86, v86, v88
	v_sub_f32_e32 v99, v106, v100
	s_delay_alu instid0(VALU_DEP_4)
	v_add_f32_e32 v49, v101, v103
	v_sub_f32_e32 v101, v101, v103
	v_dual_sub_f32 v83, v83, v95 :: v_dual_sub_f32 v100, v94, v84
	v_dual_add_f32 v88, v92, v78 :: v_dual_add_f32 v95, v89, v87
	v_dual_sub_f32 v87, v87, v89 :: v_dual_sub_f32 v78, v78, v92
	v_add_f32_e32 v92, v84, v94
	s_delay_alu instid0(VALU_DEP_3) | instskip(SKIP_1) | instid1(VALU_DEP_4)
	v_dual_sub_f32 v94, v88, v94 :: v_dual_add_f32 v89, v93, v79
	v_dual_sub_f32 v79, v79, v93 :: v_dual_sub_f32 v84, v84, v88
	v_add_f32_e32 v105, v86, v78
	v_sub_f32_e32 v107, v78, v86
	s_delay_alu instid0(VALU_DEP_3) | instskip(SKIP_4) | instid1(VALU_DEP_4)
	v_dual_sub_f32 v109, v82, v78 :: v_dual_sub_f32 v110, v83, v79
	v_add_f32_e32 v106, v87, v79
	v_add_f32_e32 v93, v96, v95
	v_dual_sub_f32 v108, v79, v87 :: v_dual_sub_f32 v79, v86, v82
	v_add_f32_e32 v86, v92, v88
	v_add_f32_e32 v92, v83, v106
	s_delay_alu instid0(VALU_DEP_4) | instskip(SKIP_2) | instid1(VALU_DEP_3)
	v_dual_add_f32 v88, v93, v89 :: v_dual_sub_f32 v103, v95, v96
	v_dual_sub_f32 v96, v96, v89 :: v_dual_sub_f32 v95, v89, v95
	v_sub_f32_e32 v87, v87, v83
	v_dual_add_f32 v89, v82, v105 :: v_dual_add_f32 v78, v88, v75
	v_add_f32_e32 v106, v86, v74
	v_mul_f32_e32 v82, 0x3d64c772, v94
	v_dual_mul_f32 v93, 0xbf08b237, v107 :: v_dual_mul_f32 v94, 0xbf08b237, v108
	v_mul_f32_e32 v74, 0x3f4a47b2, v84
	s_delay_alu instid0(VALU_DEP_3)
	v_dual_mul_f32 v75, 0x3f4a47b2, v96 :: v_dual_fmamk_f32 v84, v84, 0x3f4a47b2, v82
	v_fma_f32 v107, 0x3f3bfb3b, v100, -v82
	v_fmamk_f32 v88, v88, 0xbf955555, v78
	v_mul_f32_e32 v105, 0x3f5ff5aa, v87
	v_fmamk_f32 v86, v86, 0xbf955555, v106
	v_mul_f32_e32 v83, 0x3d64c772, v95
	v_fma_f32 v87, 0x3f5ff5aa, v87, -v94
	v_fma_f32 v100, 0xbf3bfb3b, v100, -v74
	v_add_f32_e32 v117, v61, v37
	v_add_f32_e32 v112, v35, v29
	;; [unrolled: 1-line block ×3, first 2 shown]
	v_fmac_f32_e32 v87, 0x3ee1c552, v92
	v_fmamk_f32 v108, v110, 0x3eae86e6, v94
	v_add_f32_e32 v94, v84, v86
	v_fmamk_f32 v96, v96, 0x3f4a47b2, v83
	v_fma_f32 v83, 0x3f3bfb3b, v103, -v83
	v_fma_f32 v103, 0xbf3bfb3b, v103, -v75
	v_sub_f32_e32 v127, v12, v22
	v_add_f32_e32 v121, v19, v17
	v_add_f32_e32 v75, v96, v88
	v_mul_f32_e32 v95, 0x3f5ff5aa, v79
	v_fma_f32 v79, 0x3f5ff5aa, v79, -v93
	v_add_f32_e32 v96, v43, v41
	s_delay_alu instid0(VALU_DEP_3)
	v_fma_f32 v82, 0xbeae86e6, v109, -v95
	v_add_f32_e32 v95, v107, v86
	v_add_f32_e32 v86, v100, v86
	v_fmamk_f32 v74, v109, 0x3eae86e6, v93
	v_add_f32_e32 v84, v103, v88
	v_fma_f32 v93, 0xbeae86e6, v110, -v105
	v_add_f32_e32 v83, v83, v88
	v_fmac_f32_e32 v79, 0x3ee1c552, v89
	v_fmac_f32_e32 v82, 0x3ee1c552, v89
	s_delay_alu instid0(VALU_DEP_4) | instskip(SKIP_3) | instid1(VALU_DEP_4)
	v_dual_add_f32 v88, v81, v71 :: v_dual_fmac_f32 v93, 0x3ee1c552, v92
	v_add_f32_e32 v110, v65, v59
	v_dual_add_f32 v105, v33, v25 :: v_dual_sub_f32 v100, v24, v32
	v_add_f32_e32 v109, v31, v27
	v_add_f32_e32 v115, v86, v93
	v_sub_f32_e32 v124, v86, v93
	v_sub_f32_e32 v116, v95, v87
	v_dual_add_f32 v123, v95, v87 :: v_dual_fmac_f32 v108, 0x3ee1c552, v92
	v_fmac_f32_e32 v74, 0x3ee1c552, v89
	v_dual_add_f32 v86, v80, v70 :: v_dual_sub_f32 v89, v70, v80
	v_dual_sub_f32 v70, v71, v81 :: v_dual_sub_f32 v93, v72, v76
	v_add_f32_e32 v71, v76, v72
	v_add_f32_e32 v72, v64, v58
	;; [unrolled: 1-line block ×4, first 2 shown]
	v_sub_f32_e32 v73, v73, v77
	v_dual_add_f32 v77, v86, v71 :: v_dual_sub_f32 v80, v71, v86
	v_sub_f32_e32 v71, v72, v71
	v_sub_f32_e32 v107, v94, v108
	v_dual_sub_f32 v108, v58, v64 :: v_dual_add_f32 v95, v45, v39
	s_delay_alu instid0(VALU_DEP_3) | instskip(SKIP_3) | instid1(VALU_DEP_3)
	v_dual_sub_f32 v94, v40, v42 :: v_dual_mul_f32 v71, 0x3d64c772, v71
	v_dual_sub_f32 v76, v59, v65 :: v_dual_sub_f32 v81, v86, v72
	v_add_f32_e32 v72, v77, v72
	v_add_f32_e32 v65, v60, v36
	v_dual_add_f32 v133, v79, v83 :: v_dual_add_f32 v86, v73, v76
	v_dual_sub_f32 v77, v76, v73 :: v_dual_sub_f32 v76, v70, v76
	v_sub_f32_e32 v73, v73, v70
	s_delay_alu instid0(VALU_DEP_3) | instskip(NEXT) | instid1(VALU_DEP_3)
	v_dual_sub_f32 v79, v83, v79 :: v_dual_add_f32 v70, v70, v86
	v_mul_f32_e32 v77, 0xbf08b237, v77
	v_mul_f32_e32 v86, 0x3f4a47b2, v81
	s_delay_alu instid0(VALU_DEP_4) | instskip(SKIP_1) | instid1(VALU_DEP_4)
	v_mul_f32_e32 v87, 0x3f5ff5aa, v73
	v_dual_fmamk_f32 v81, v81, 0x3f4a47b2, v71 :: v_dual_add_f32 v50, v72, v50
	v_fma_f32 v73, 0x3f5ff5aa, v73, -v77
	v_fma_f32 v71, 0x3f3bfb3b, v80, -v71
	v_sub_f32_e32 v83, v93, v89
	s_delay_alu instid0(VALU_DEP_3) | instskip(SKIP_1) | instid1(VALU_DEP_1)
	v_fmac_f32_e32 v73, 0x3ee1c552, v70
	v_fmamk_f32 v72, v72, 0xbf955555, v50
	v_add_f32_e32 v71, v71, v72
	v_fma_f32 v80, 0xbf3bfb3b, v80, -v86
	v_fmamk_f32 v86, v76, 0x3eae86e6, v77
	v_fma_f32 v76, 0xbeae86e6, v76, -v87
	v_add_f32_e32 v87, v67, v63
	v_dual_sub_f32 v63, v63, v67 :: v_dual_add_f32 v64, v68, v56
	s_delay_alu instid0(VALU_DEP_3)
	v_fmac_f32_e32 v76, 0x3ee1c552, v70
	v_fmac_f32_e32 v86, 0x3ee1c552, v70
	v_sub_f32_e32 v70, v71, v73
	v_add_f32_e32 v71, v71, v73
	v_add_f32_e32 v77, v81, v72
	v_dual_add_f32 v72, v80, v72 :: v_dual_add_f32 v81, v69, v57
	s_delay_alu instid0(VALU_DEP_2) | instskip(NEXT) | instid1(VALU_DEP_2)
	v_sub_f32_e32 v73, v77, v86
	v_dual_add_f32 v59, v72, v76 :: v_dual_add_f32 v58, v77, v86
	v_sub_f32_e32 v86, v56, v68
	v_dual_sub_f32 v56, v57, v69 :: v_dual_add_f32 v57, v66, v62
	v_sub_f32_e32 v62, v62, v66
	v_sub_f32_e32 v66, v37, v61
	s_delay_alu instid0(VALU_DEP_1) | instskip(NEXT) | instid1(VALU_DEP_4)
	v_dual_sub_f32 v72, v72, v76 :: v_dual_add_f32 v69, v63, v66
	v_dual_add_f32 v67, v64, v57 :: v_dual_sub_f32 v68, v57, v64
	v_sub_f32_e32 v64, v64, v65
	v_sub_f32_e32 v57, v65, v57
	s_delay_alu instid0(VALU_DEP_3) | instskip(SKIP_2) | instid1(VALU_DEP_4)
	v_add_f32_e32 v65, v67, v65
	v_sub_f32_e32 v67, v66, v63
	v_sub_f32_e32 v63, v63, v56
	v_mul_f32_e32 v57, 0x3d64c772, v57
	s_delay_alu instid0(VALU_DEP_4) | instskip(NEXT) | instid1(VALU_DEP_4)
	v_dual_add_f32 v47, v65, v47 :: v_dual_sub_f32 v66, v56, v66
	v_dual_add_f32 v56, v56, v69 :: v_dual_mul_f32 v67, 0xbf08b237, v67
	s_delay_alu instid0(VALU_DEP_3) | instskip(SKIP_1) | instid1(VALU_DEP_2)
	v_dual_mul_f32 v69, 0x3f4a47b2, v64 :: v_dual_fmamk_f32 v64, v64, 0x3f4a47b2, v57
	v_fma_f32 v57, 0x3f3bfb3b, v68, -v57
	v_fma_f32 v68, 0xbf3bfb3b, v68, -v69
	s_delay_alu instid0(VALU_DEP_4) | instskip(NEXT) | instid1(VALU_DEP_1)
	v_fmamk_f32 v69, v66, 0x3eae86e6, v67
	v_fmac_f32_e32 v69, 0x3ee1c552, v56
	v_fmamk_f32 v65, v65, 0xbf955555, v47
	s_delay_alu instid0(VALU_DEP_1) | instskip(NEXT) | instid1(VALU_DEP_1)
	v_add_f32_e32 v64, v64, v65
	v_add_f32_e32 v36, v64, v69
	v_dual_mul_f32 v76, 0x3f5ff5aa, v63 :: v_dual_add_f32 v57, v57, v65
	v_fma_f32 v63, 0x3f5ff5aa, v63, -v67
	s_delay_alu instid0(VALU_DEP_2) | instskip(NEXT) | instid1(VALU_DEP_1)
	v_fma_f32 v66, 0xbeae86e6, v66, -v76
	v_dual_add_f32 v65, v68, v65 :: v_dual_fmac_f32 v66, 0x3ee1c552, v56
	s_delay_alu instid0(VALU_DEP_1) | instskip(SKIP_1) | instid1(VALU_DEP_2)
	v_dual_fmac_f32 v63, 0x3ee1c552, v56 :: v_dual_sub_f32 v60, v65, v66
	v_add_f32_e32 v37, v65, v66
	v_sub_f32_e32 v56, v57, v63
	v_add_f32_e32 v57, v57, v63
	v_sub_f32_e32 v61, v64, v69
	v_dual_add_f32 v64, v44, v38 :: v_dual_sub_f32 v63, v38, v44
	v_dual_sub_f32 v38, v39, v45 :: v_dual_sub_f32 v41, v41, v43
	v_add_f32_e32 v39, v42, v40
	v_add_f32_e32 v40, v34, v28
	v_sub_f32_e32 v42, v29, v35
	s_delay_alu instid0(VALU_DEP_3) | instskip(NEXT) | instid1(VALU_DEP_2)
	v_dual_add_f32 v43, v64, v39 :: v_dual_sub_f32 v44, v39, v64
	v_dual_sub_f32 v45, v64, v40 :: v_dual_add_f32 v64, v41, v42
	s_delay_alu instid0(VALU_DEP_2) | instskip(NEXT) | instid1(VALU_DEP_1)
	v_dual_sub_f32 v39, v40, v39 :: v_dual_add_f32 v40, v43, v40
	v_add_f32_e32 v67, v40, v4
	v_sub_f32_e32 v43, v42, v41
	s_delay_alu instid0(VALU_DEP_3) | instskip(SKIP_2) | instid1(VALU_DEP_3)
	v_dual_sub_f32 v41, v41, v38 :: v_dual_mul_f32 v4, 0x3d64c772, v39
	v_sub_f32_e32 v42, v38, v42
	v_add_f32_e32 v38, v38, v64
	v_mul_f32_e32 v64, 0x3f5ff5aa, v41
	v_fmamk_f32 v40, v40, 0xbf955555, v67
	v_mul_f32_e32 v39, 0x3f4a47b2, v45
	v_mul_f32_e32 v43, 0xbf08b237, v43
	v_fmamk_f32 v45, v45, 0x3f4a47b2, v4
	v_fma_f32 v4, 0x3f3bfb3b, v44, -v4
	s_delay_alu instid0(VALU_DEP_3) | instskip(NEXT) | instid1(VALU_DEP_2)
	v_fma_f32 v41, 0x3f5ff5aa, v41, -v43
	v_add_f32_e32 v4, v4, v40
	v_fma_f32 v39, 0xbf3bfb3b, v44, -v39
	v_dual_fmamk_f32 v44, v42, 0x3eae86e6, v43 :: v_dual_add_f32 v43, v45, v40
	v_fma_f32 v42, 0xbeae86e6, v42, -v64
	v_fmac_f32_e32 v41, 0x3ee1c552, v38
	s_delay_alu instid0(VALU_DEP_3) | instskip(NEXT) | instid1(VALU_DEP_2)
	v_dual_add_f32 v39, v39, v40 :: v_dual_fmac_f32 v44, 0x3ee1c552, v38
	v_dual_fmac_f32 v42, 0x3ee1c552, v38 :: v_dual_add_f32 v35, v4, v41
	v_sub_f32_e32 v34, v4, v41
	v_add_f32_e32 v4, v32, v24
	s_delay_alu instid0(VALU_DEP_3)
	v_dual_sub_f32 v24, v25, v33 :: v_dual_add_f32 v29, v39, v42
	v_sub_f32_e32 v38, v39, v42
	v_add_f32_e32 v25, v30, v26
	v_sub_f32_e32 v39, v43, v44
	v_sub_f32_e32 v103, v26, v30
	v_dual_add_f32 v26, v22, v12 :: v_dual_sub_f32 v27, v27, v31
	s_delay_alu instid0(VALU_DEP_4) | instskip(SKIP_1) | instid1(VALU_DEP_3)
	v_dual_sub_f32 v30, v13, v23 :: v_dual_add_f32 v31, v4, v25
	v_sub_f32_e32 v32, v25, v4
	v_dual_sub_f32 v4, v4, v26 :: v_dual_sub_f32 v25, v26, v25
	v_add_f32_e32 v28, v43, v44
	s_delay_alu instid0(VALU_DEP_4) | instskip(SKIP_2) | instid1(VALU_DEP_2)
	v_add_f32_e32 v26, v31, v26
	v_add_f32_e32 v33, v27, v30
	v_dual_sub_f32 v31, v30, v27 :: v_dual_sub_f32 v30, v24, v30
	v_dual_sub_f32 v27, v27, v24 :: v_dual_add_f32 v24, v24, v33
	s_delay_alu instid0(VALU_DEP_4) | instskip(SKIP_1) | instid1(VALU_DEP_3)
	v_dual_add_f32 v33, v26, v2 :: v_dual_mul_f32 v2, 0x3d64c772, v25
	v_mul_f32_e32 v25, 0x3f4a47b2, v4
	v_mul_f32_e32 v40, 0x3f5ff5aa, v27
	s_delay_alu instid0(VALU_DEP_3) | instskip(NEXT) | instid1(VALU_DEP_4)
	v_fmamk_f32 v4, v4, 0x3f4a47b2, v2
	v_fmamk_f32 v26, v26, 0xbf955555, v33
	v_fma_f32 v2, 0x3f3bfb3b, v32, -v2
	s_delay_alu instid0(VALU_DEP_2) | instskip(NEXT) | instid1(VALU_DEP_2)
	v_dual_mul_f32 v31, 0xbf08b237, v31 :: v_dual_add_f32 v4, v4, v26
	v_add_f32_e32 v2, v2, v26
	v_fma_f32 v25, 0xbf3bfb3b, v32, -v25
	s_delay_alu instid0(VALU_DEP_3) | instskip(SKIP_2) | instid1(VALU_DEP_3)
	v_fmamk_f32 v32, v30, 0x3eae86e6, v31
	v_fma_f32 v27, 0x3f5ff5aa, v27, -v31
	v_fma_f32 v30, 0xbeae86e6, v30, -v40
	v_dual_add_f32 v25, v25, v26 :: v_dual_fmac_f32 v32, 0x3ee1c552, v24
	s_delay_alu instid0(VALU_DEP_3) | instskip(NEXT) | instid1(VALU_DEP_1)
	v_fmac_f32_e32 v27, 0x3ee1c552, v24
	v_dual_fmac_f32 v30, 0x3ee1c552, v24 :: v_dual_add_f32 v23, v2, v27
	s_delay_alu instid0(VALU_DEP_1)
	v_sub_f32_e32 v24, v25, v30
	v_sub_f32_e32 v22, v2, v27
	v_add_f32_e32 v2, v20, v14
	v_add_f32_e32 v14, v18, v16
	v_dual_add_f32 v12, v4, v32 :: v_dual_add_f32 v13, v25, v30
	v_dual_sub_f32 v25, v4, v32 :: v_dual_add_f32 v122, v9, v11
	v_sub_f32_e32 v9, v11, v9
	s_delay_alu instid0(VALU_DEP_4) | instskip(SKIP_1) | instid1(VALU_DEP_1)
	v_dual_sub_f32 v4, v15, v21 :: v_dual_add_f32 v11, v2, v14
	v_dual_sub_f32 v15, v17, v19 :: v_dual_add_f32 v16, v8, v10
	;; [unrolled: 1-line block ×3, first 2 shown]
	s_delay_alu instid0(VALU_DEP_2) | instskip(NEXT) | instid1(VALU_DEP_4)
	v_sub_f32_e32 v2, v2, v16
	v_dual_sub_f32 v14, v16, v14 :: v_dual_add_f32 v11, v11, v16
	v_dual_sub_f32 v16, v9, v15 :: v_dual_sub_f32 v15, v15, v4
	v_sub_f32_e32 v9, v4, v9
	s_delay_alu instid0(VALU_DEP_2) | instskip(NEXT) | instid1(VALU_DEP_4)
	v_dual_mul_f32 v19, 0x3f5ff5aa, v15 :: v_dual_add_f32 v4, v4, v18
	v_add_f32_e32 v18, v11, v0
	v_mul_f32_e32 v0, 0x3d64c772, v14
	v_mul_f32_e32 v14, 0x3f4a47b2, v2
	s_delay_alu instid0(VALU_DEP_3) | instskip(NEXT) | instid1(VALU_DEP_3)
	v_fmamk_f32 v11, v11, 0xbf955555, v18
	v_fmamk_f32 v2, v2, 0x3f4a47b2, v0
	s_delay_alu instid0(VALU_DEP_3) | instskip(SKIP_1) | instid1(VALU_DEP_2)
	v_fma_f32 v14, 0xbf3bfb3b, v17, -v14
	v_fma_f32 v0, 0x3f3bfb3b, v17, -v0
	v_add_f32_e32 v14, v14, v11
	v_mul_f32_e32 v16, 0xbf08b237, v16
	s_delay_alu instid0(VALU_DEP_1) | instskip(NEXT) | instid1(VALU_DEP_4)
	v_dual_fmamk_f32 v17, v9, 0x3eae86e6, v16 :: v_dual_add_f32 v2, v2, v11
	v_add_f32_e32 v11, v0, v11
	v_mad_u32_u24 v0, v52, 28, 0
	v_fma_f32 v9, 0xbeae86e6, v9, -v19
	s_delay_alu instid0(VALU_DEP_4) | instskip(NEXT) | instid1(VALU_DEP_3)
	v_fmac_f32_e32 v17, 0x3ee1c552, v4
	v_add_nc_u32_e32 v129, 0x55c, v0
	s_delay_alu instid0(VALU_DEP_3)
	v_fmac_f32_e32 v9, 0x3ee1c552, v4
	v_add_nc_u32_e32 v130, 0x564, v0
	v_add_nc_u32_e32 v131, 0x56c, v0
	;; [unrolled: 1-line block ×3, first 2 shown]
	ds_store_2addr_b32 v0, v46, v49 offset1:1
	ds_store_2addr_b32 v0, v53, v97 offset0:2 offset1:3
	ds_store_2addr_b32 v0, v98, v99 offset0:4 offset1:5
	ds_store_b32 v0, v101 offset:24
	ds_store_2addr_b32 v129, v106, v114 offset1:1
	ds_store_2addr_b32 v130, v115, v116 offset1:1
	;; [unrolled: 1-line block ×4, first 2 shown]
	v_lshl_add_u32 v53, v52, 2, 0
	v_sub_f32_e32 v128, v10, v8
	v_dual_add_f32 v10, v14, v9 :: v_dual_add_nc_u32 v77, 0x1014, v0
	v_sub_f32_e32 v9, v14, v9
	v_fma_f32 v15, 0x3f5ff5aa, v15, -v16
	v_dual_sub_f32 v101, v110, v92 :: v_dual_add_nc_u32 v134, 0x800, v53
	v_dual_add_f32 v97, v88, v92 :: v_dual_add_f32 v8, v2, v17
	s_delay_alu instid0(VALU_DEP_3)
	v_dual_fmac_f32 v15, 0x3ee1c552, v4 :: v_dual_sub_f32 v14, v2, v17
	v_dual_sub_f32 v123, v108, v93 :: v_dual_add_nc_u32 v64, 0xac0, v0
	v_add_nc_u32_e32 v76, 0xac8, v0
	v_add_nc_u32_e32 v80, 0x101c, v0
	;; [unrolled: 1-line block ×3, first 2 shown]
	v_dual_add_f32 v124, v93, v108 :: v_dual_add_nc_u32 v135, 0x1400, v53
	v_add_f32_e32 v97, v97, v110
	v_dual_sub_f32 v110, v88, v110 :: v_dual_mul_f32 v101, 0x3d64c772, v101
	v_sub_f32_e32 v88, v92, v88
	v_dual_add_f32 v93, v81, v87 :: v_dual_add_nc_u32 v4, 0x1570, v0
	v_dual_sub_f32 v108, v89, v108 :: v_dual_add_nc_u32 v139, 0x1000, v53
	v_dual_add_f32 v124, v89, v124 :: v_dual_add_nc_u32 v115, 0x1c00, v53
	v_add_f32_e32 v51, v97, v51
	v_mul_f32_e32 v123, 0xbf08b237, v123
	v_dual_fmamk_f32 v140, v110, 0x3f4a47b2, v101 :: v_dual_mul_f32 v89, 0x3f4a47b2, v110
	v_mul_f32_e32 v92, 0x3f5ff5aa, v83
	v_fma_f32 v101, 0x3f3bfb3b, v88, -v101
	v_add_f32_e32 v110, v62, v113
	v_dual_sub_f32 v16, v11, v15 :: v_dual_add_nc_u32 v65, 0x1578, v0
	v_fma_f32 v88, 0xbf3bfb3b, v88, -v89
	v_fma_f32 v89, 0xbeae86e6, v108, -v92
	v_add_f32_e32 v92, v93, v117
	v_fmamk_f32 v97, v97, 0xbf955555, v51
	v_fmamk_f32 v141, v108, 0x3eae86e6, v123
	v_fma_f32 v83, 0x3f5ff5aa, v83, -v123
	v_dual_sub_f32 v99, v84, v82 :: v_dual_add_nc_u32 v68, 0x1ae0, v0
	v_add_f32_e32 v82, v82, v84
	s_delay_alu instid0(VALU_DEP_4)
	v_dual_fmac_f32 v141, 0x3ee1c552, v124 :: v_dual_add_f32 v110, v86, v110
	v_add_f32_e32 v48, v92, v48
	v_dual_add_f32 v93, v101, v97 :: v_dual_add_nc_u32 v66, 0x1580, v0
	ds_store_2addr_b32 v64, v59, v70 offset1:1
	ds_store_2addr_b32 v76, v71, v72 offset1:1
	;; [unrolled: 1-line block ×8, first 2 shown]
	ds_store_b32 v0, v107 offset:1396
	ds_store_b32 v0, v73 offset:2768
	;; [unrolled: 1-line block ×5, first 2 shown]
	v_dual_add_f32 v84, v140, v97 :: v_dual_add_nc_u32 v69, 0x1ad0, v0
	v_dual_add_f32 v88, v88, v97 :: v_dual_add_nc_u32 v71, 0x202c, v0
	v_add_nc_u32_e32 v107, 0x1200, v53
	v_fmac_f32_e32 v83, 0x3ee1c552, v124
	v_sub_f32_e32 v97, v117, v87
	v_dual_sub_f32 v108, v81, v117 :: v_dual_add_nc_u32 v73, 0x203c, v0
	v_dual_fmac_f32 v89, 0x3ee1c552, v124 :: v_dual_sub_f32 v124, v84, v141
	s_delay_alu instid0(VALU_DEP_4) | instskip(NEXT) | instid1(VALU_DEP_4)
	v_add_f32_e32 v142, v83, v93
	v_mul_f32_e32 v97, 0x3d64c772, v97
	v_add_nc_u32_e32 v67, 0x1ad8, v0
	v_dual_sub_f32 v101, v113, v62 :: v_dual_add_nc_u32 v72, 0x2034, v0
	v_add_nc_u32_e32 v137, 0x400, v53
	v_add_nc_u32_e32 v136, 0x2000, v53
	v_sub_f32_e32 v98, v75, v74
	v_fmamk_f32 v92, v92, 0xbf955555, v48
	v_dual_sub_f32 v143, v88, v89 :: v_dual_add_f32 v88, v89, v88
	v_fmamk_f32 v117, v108, 0x3f4a47b2, v97
	v_dual_add_f32 v11, v11, v15 :: v_dual_add_nc_u32 v106, 0xe00, v53
	v_dual_sub_f32 v83, v93, v83 :: v_dual_add_nc_u32 v116, 0x1800, v53
	v_add_nc_u32_e32 v138, 0x1a00, v53
	v_add_nc_u32_e32 v114, 0x600, v53
	v_dual_sub_f32 v89, v85, v102 :: v_dual_add_nc_u32 v126, 0xc00, v53
	ds_store_2addr_b32 v67, v22, v23 offset1:1
	ds_store_2addr_b32 v68, v24, v25 offset1:1
	;; [unrolled: 1-line block ×3, first 2 shown]
	ds_store_b32 v0, v18 offset:8232
	ds_store_2addr_b32 v71, v8, v10 offset1:1
	ds_store_2addr_b32 v72, v16, v11 offset1:1
	ds_store_2addr_b32 v73, v9, v14 offset1:1
	global_wb scope:SCOPE_SE
	s_wait_dscnt 0x0
	s_barrier_signal -1
	s_barrier_wait -1
	global_inv scope:SCOPE_SE
	ds_load_2addr_b32 v[14:15], v53 offset1:49
	ds_load_2addr_b32 v[8:9], v137 offset0:38 offset1:87
	v_sub_f32_e32 v113, v86, v113
	v_add_f32_e32 v117, v117, v92
	ds_load_2addr_b32 v[16:17], v134 offset0:174 offset1:223
	ds_load_2addr_b32 v[18:19], v106 offset0:84 offset1:133
	;; [unrolled: 1-line block ×11, first 2 shown]
	ds_load_b32 v70, v53 offset:9408
	ds_load_2addr_b32 v[49:50], v136 offset0:108 offset1:157
	ds_load_2addr_b32 v[24:25], v114 offset0:106 offset1:155
	;; [unrolled: 1-line block ×11, first 2 shown]
	global_wb scope:SCOPE_SE
	s_wait_dscnt 0x0
	s_barrier_signal -1
	s_barrier_wait -1
	global_inv scope:SCOPE_SE
	v_mul_f32_e32 v101, 0xbf08b237, v101
	ds_store_2addr_b32 v129, v78, v98 offset1:1
	ds_store_2addr_b32 v130, v99, v133 offset1:1
	;; [unrolled: 1-line block ×4, first 2 shown]
	v_add_f32_e32 v51, v104, v102
	v_dual_sub_f32 v82, v104, v85 :: v_dual_sub_f32 v79, v102, v104
	v_fmamk_f32 v123, v113, 0x3eae86e6, v101
	v_dual_mul_f32 v89, 0x3d64c772, v89 :: v_dual_sub_f32 v62, v62, v86
	s_delay_alu instid0(VALU_DEP_4) | instskip(SKIP_2) | instid1(VALU_DEP_4)
	v_add_f32_e32 v51, v51, v85
	v_add_f32_e32 v85, v91, v6
	v_dual_sub_f32 v81, v87, v81 :: v_dual_add_f32 v74, v74, v75
	v_mul_f32_e32 v87, 0x3f5ff5aa, v62
	v_add_f32_e32 v75, v141, v84
	s_delay_alu instid0(VALU_DEP_4)
	v_add_f32_e32 v85, v90, v85
	v_sub_f32_e32 v93, v6, v91
	v_sub_f32_e32 v6, v90, v6
	;; [unrolled: 1-line block ×3, first 2 shown]
	v_mul_f32_e32 v90, 0x3f4a47b2, v82
	v_fmamk_f32 v82, v82, 0x3f4a47b2, v89
	v_mul_f32_e32 v93, 0xbf08b237, v93
	v_add_f32_e32 v7, v51, v7
	v_fma_f32 v89, 0x3f3bfb3b, v79, -v89
	v_mul_f32_e32 v98, 0x3f5ff5aa, v91
	v_fma_f32 v79, 0xbf3bfb3b, v79, -v90
	v_fmamk_f32 v90, v6, 0x3eae86e6, v93
	v_sub_f32_e32 v102, v100, v127
	v_add_f32_e32 v99, v103, v127
	v_fma_f32 v6, 0xbeae86e6, v6, -v98
	v_add_nc_u32_e32 v141, 0xf5, v52
	v_fmac_f32_e32 v90, 0x3ee1c552, v85
	v_fmamk_f32 v51, v51, 0xbf955555, v7
	s_delay_alu instid0(VALU_DEP_4) | instskip(SKIP_1) | instid1(VALU_DEP_3)
	v_dual_fmac_f32 v123, 0x3ee1c552, v110 :: v_dual_fmac_f32 v6, 0x3ee1c552, v85
	v_dual_add_f32 v99, v100, v99 :: v_dual_add_nc_u32 v140, 0xc4, v52
	v_add_f32_e32 v82, v82, v51
	s_delay_alu instid0(VALU_DEP_3) | instskip(SKIP_4) | instid1(VALU_DEP_4)
	v_sub_f32_e32 v78, v117, v123
	v_fma_f32 v62, 0x3f5ff5aa, v62, -v101
	v_add_f32_e32 v89, v89, v51
	v_add_f32_e32 v51, v79, v51
	v_sub_f32_e32 v101, v127, v103
	v_dual_sub_f32 v103, v103, v100 :: v_dual_fmac_f32 v62, 0x3ee1c552, v110
	s_delay_alu instid0(VALU_DEP_3) | instskip(SKIP_4) | instid1(VALU_DEP_4)
	v_sub_f32_e32 v86, v51, v6
	v_fma_f32 v91, 0x3f5ff5aa, v91, -v93
	v_dual_add_f32 v6, v6, v51 :: v_dual_mul_f32 v51, 0x3f4a47b2, v108
	v_sub_f32_e32 v93, v112, v96
	v_mul_f32_e32 v101, 0xbf08b237, v101
	v_fmac_f32_e32 v91, 0x3ee1c552, v85
	v_mul_f32_e32 v104, 0x3f5ff5aa, v103
	v_fma_f32 v51, 0xbf3bfb3b, v81, -v51
	v_mul_f32_e32 v93, 0x3d64c772, v93
	v_fma_f32 v103, 0x3f5ff5aa, v103, -v101
	v_add_f32_e32 v79, v91, v89
	v_sub_f32_e32 v85, v89, v91
	v_fma_f32 v91, 0x3f3bfb3b, v81, -v97
	v_fma_f32 v81, 0xbeae86e6, v113, -v87
	v_add_f32_e32 v51, v51, v92
	v_sub_f32_e32 v89, v82, v90
	s_delay_alu instid0(VALU_DEP_4) | instskip(NEXT) | instid1(VALU_DEP_4)
	v_dual_add_f32 v82, v90, v82 :: v_dual_add_f32 v87, v91, v92
	v_dual_fmac_f32 v81, 0x3ee1c552, v110 :: v_dual_sub_f32 v92, v95, v112
	v_sub_f32_e32 v97, v63, v111
	v_fmac_f32_e32 v103, 0x3ee1c552, v99
	s_delay_alu instid0(VALU_DEP_4) | instskip(NEXT) | instid1(VALU_DEP_4)
	v_dual_add_f32 v84, v62, v87 :: v_dual_sub_f32 v87, v87, v62
	v_dual_sub_f32 v90, v51, v81 :: v_dual_add_f32 v81, v81, v51
	v_dual_add_f32 v51, v95, v96 :: v_dual_sub_f32 v62, v96, v95
	v_dual_add_f32 v95, v94, v111 :: v_dual_sub_f32 v96, v111, v94
	v_sub_f32_e32 v94, v94, v63
	v_sub_f32_e32 v110, v119, v118
	ds_store_2addr_b32 v0, v7, v89 offset1:1
	ds_store_2addr_b32 v0, v86, v79 offset0:2 offset1:3
	ds_store_2addr_b32 v0, v85, v6 offset0:4 offset1:5
	ds_store_b32 v0, v82 offset:24
	v_add_f32_e32 v63, v63, v95
	v_mul_f32_e32 v95, 0x3f4a47b2, v92
	v_mul_f32_e32 v96, 0xbf08b237, v96
	;; [unrolled: 1-line block ×3, first 2 shown]
	v_fmamk_f32 v92, v92, 0x3f4a47b2, v93
	v_fma_f32 v93, 0x3f3bfb3b, v62, -v93
	v_fma_f32 v62, 0xbf3bfb3b, v62, -v95
	;; [unrolled: 1-line block ×4, first 2 shown]
	v_sub_f32_e32 v98, v125, v109
	v_fmamk_f32 v96, v97, 0x3eae86e6, v96
	ds_store_2addr_b32 v64, v143, v142 offset1:1
	ds_store_2addr_b32 v76, v83, v88 offset1:1
	;; [unrolled: 1-line block ×4, first 2 shown]
	v_fmac_f32_e32 v94, 0x3ee1c552, v63
	v_fmac_f32_e32 v95, 0x3ee1c552, v63
	v_mul_f32_e32 v98, 0x3d64c772, v98
	v_dual_fmac_f32 v96, 0x3ee1c552, v63 :: v_dual_add_f32 v51, v51, v112
	v_sub_f32_e32 v63, v105, v125
	v_and_b32_e32 v64, 0xffff, v141
	v_mul_f32_e32 v113, 0x3f5ff5aa, v110
	s_delay_alu instid0(VALU_DEP_4) | instskip(NEXT) | instid1(VALU_DEP_4)
	v_dual_add_f32 v5, v51, v5 :: v_dual_add_nc_u32 v142, 0x126, v52
	v_dual_mul_f32 v100, 0x3f4a47b2, v63 :: v_dual_fmamk_f32 v63, v63, 0x3f4a47b2, v98
	s_delay_alu instid0(VALU_DEP_2) | instskip(NEXT) | instid1(VALU_DEP_1)
	v_fmamk_f32 v51, v51, 0xbf955555, v5
	v_dual_add_f32 v91, v123, v117 :: v_dual_add_f32 v62, v62, v51
	v_add_f32_e32 v93, v93, v51
	s_delay_alu instid0(VALU_DEP_1) | instskip(NEXT) | instid1(VALU_DEP_3)
	v_dual_add_f32 v51, v92, v51 :: v_dual_add_f32 v92, v94, v93
	v_dual_sub_f32 v93, v93, v94 :: v_dual_sub_f32 v94, v62, v95
	v_dual_add_f32 v95, v95, v62 :: v_dual_add_f32 v62, v105, v109
	s_delay_alu instid0(VALU_DEP_1) | instskip(NEXT) | instid1(VALU_DEP_1)
	v_add_f32_e32 v62, v62, v125
	v_add_f32_e32 v3, v62, v3
	s_delay_alu instid0(VALU_DEP_1) | instskip(SKIP_4) | instid1(VALU_DEP_4)
	v_dual_fmamk_f32 v62, v62, 0xbf955555, v3 :: v_dual_sub_f32 v97, v51, v96
	v_dual_add_f32 v96, v96, v51 :: v_dual_sub_f32 v51, v109, v105
	v_sub_f32_e32 v109, v118, v128
	v_fmamk_f32 v101, v102, 0x3eae86e6, v101
	v_add_f32_e32 v105, v119, v128
	v_fma_f32 v98, 0x3f3bfb3b, v51, -v98
	v_fma_f32 v51, 0xbf3bfb3b, v51, -v100
	;; [unrolled: 1-line block ×3, first 2 shown]
	s_delay_alu instid0(VALU_DEP_4) | instskip(NEXT) | instid1(VALU_DEP_4)
	v_add_f32_e32 v105, v118, v105
	v_add_f32_e32 v98, v98, v62
	s_delay_alu instid0(VALU_DEP_3) | instskip(SKIP_2) | instid1(VALU_DEP_4)
	v_dual_add_f32 v51, v51, v62 :: v_dual_fmac_f32 v100, 0x3ee1c552, v99
	v_add_f32_e32 v62, v63, v62
	v_sub_f32_e32 v63, v120, v122
	v_add_f32_e32 v102, v103, v98
	s_delay_alu instid0(VALU_DEP_4)
	v_dual_sub_f32 v98, v98, v103 :: v_dual_sub_f32 v103, v51, v100
	v_add_f32_e32 v100, v100, v51
	v_add_f32_e32 v51, v120, v121
	v_mul_f32_e32 v111, 0x3f4a47b2, v63
	ds_store_2addr_b32 v2, v87, v81 offset1:1
	ds_store_2addr_b32 v4, v5, v97 offset1:1
	;; [unrolled: 1-line block ×4, first 2 shown]
	v_mul_u32_u24_e32 v4, 0x2493, v64
	ds_store_b32 v0, v74 offset:1396
	ds_store_b32 v0, v75 offset:2768
	;; [unrolled: 1-line block ×5, first 2 shown]
	v_dual_add_f32 v108, v51, v122 :: v_dual_sub_f32 v51, v128, v119
	v_and_b32_e32 v65, 0xffff, v142
	v_lshrrev_b32_e32 v4, 16, v4
	v_add_nc_u16 v66, v52, 0x62
	s_delay_alu instid0(VALU_DEP_4) | instskip(SKIP_1) | instid1(VALU_DEP_2)
	v_dual_add_f32 v1, v108, v1 :: v_dual_mul_f32 v112, 0xbf08b237, v51
	v_add_nc_u16 v51, v52, 0x93
	v_fmamk_f32 v108, v108, 0xbf955555, v1
	s_delay_alu instid0(VALU_DEP_3)
	v_fma_f32 v110, 0x3f5ff5aa, v110, -v112
	v_fmamk_f32 v112, v109, 0x3eae86e6, v112
	v_fmac_f32_e32 v101, 0x3ee1c552, v99
	v_sub_f32_e32 v99, v122, v121
	v_fma_f32 v109, 0xbeae86e6, v109, -v113
	v_fmac_f32_e32 v110, 0x3ee1c552, v105
	v_fmac_f32_e32 v112, 0x3ee1c552, v105
	v_dual_sub_f32 v104, v62, v101 :: v_dual_add_f32 v101, v101, v62
	v_dual_sub_f32 v62, v121, v120 :: v_dual_mul_f32 v99, 0x3d64c772, v99
	v_fmac_f32_e32 v109, 0x3ee1c552, v105
	ds_store_2addr_b32 v67, v102, v98 offset1:1
	ds_store_2addr_b32 v68, v100, v101 offset1:1
	v_and_b32_e32 v67, 0xff, v66
	v_fma_f32 v111, 0xbf3bfb3b, v62, -v111
	v_fmamk_f32 v63, v63, 0x3f4a47b2, v99
	v_fma_f32 v99, 0x3f3bfb3b, v62, -v99
	v_and_b32_e32 v62, 0xff, v51
	ds_store_2addr_b32 v69, v104, v103 offset1:1
	ds_store_b32 v0, v1 offset:8232
	v_and_b32_e32 v69, 0xff, v52
	v_add_f32_e32 v113, v63, v108
	v_add_f32_e32 v99, v99, v108
	v_mul_lo_u16 v63, v62, 37
	v_add_f32_e32 v108, v111, v108
	v_mul_lo_u16 v69, v69, 37
	s_delay_alu instid0(VALU_DEP_4) | instskip(NEXT) | instid1(VALU_DEP_4)
	v_add_f32_e32 v105, v110, v99
	v_lshrrev_b16 v111, 8, v63
	v_dual_sub_f32 v110, v99, v110 :: v_dual_and_b32 v63, 0xff, v140
	v_dual_sub_f32 v119, v108, v109 :: v_dual_add_f32 v108, v109, v108
	s_delay_alu instid0(VALU_DEP_3) | instskip(NEXT) | instid1(VALU_DEP_3)
	v_sub_nc_u16 v117, v51, v111
	v_mul_lo_u16 v118, v63, 37
	s_delay_alu instid0(VALU_DEP_2) | instskip(NEXT) | instid1(VALU_DEP_2)
	v_lshrrev_b16 v99, 1, v117
	v_lshrrev_b16 v109, 8, v118
	s_delay_alu instid0(VALU_DEP_2) | instskip(NEXT) | instid1(VALU_DEP_2)
	v_and_b32_e32 v6, 0x7f, v99
	v_sub_nc_u16 v7, v140, v109
	s_delay_alu instid0(VALU_DEP_2) | instskip(NEXT) | instid1(VALU_DEP_2)
	v_add_nc_u16 v6, v6, v111
	v_lshrrev_b16 v7, 1, v7
	s_delay_alu instid0(VALU_DEP_2) | instskip(NEXT) | instid1(VALU_DEP_2)
	v_lshrrev_b16 v99, 2, v6
	v_and_b32_e32 v2, 0x7f, v7
	s_delay_alu instid0(VALU_DEP_2) | instskip(NEXT) | instid1(VALU_DEP_2)
	v_mul_lo_u16 v3, v99, 7
	v_add_nc_u16 v2, v2, v109
	s_delay_alu instid0(VALU_DEP_2) | instskip(NEXT) | instid1(VALU_DEP_2)
	v_sub_nc_u16 v3, v51, v3
	v_lshrrev_b16 v48, 2, v2
	v_sub_nc_u16 v2, v141, v4
	s_delay_alu instid0(VALU_DEP_3) | instskip(NEXT) | instid1(VALU_DEP_3)
	v_and_b32_e32 v101, 0xff, v3
	v_mul_lo_u16 v0, v48, 7
	s_delay_alu instid0(VALU_DEP_3) | instskip(SKIP_1) | instid1(VALU_DEP_4)
	v_lshrrev_b16 v1, 1, v2
	v_add_nc_u16 v3, v52, 49
	v_mul_u32_u24_e32 v2, 6, v101
	s_delay_alu instid0(VALU_DEP_4) | instskip(NEXT) | instid1(VALU_DEP_4)
	v_sub_nc_u16 v0, v140, v0
	v_add_nc_u16 v1, v1, v4
	s_delay_alu instid0(VALU_DEP_4) | instskip(SKIP_1) | instid1(VALU_DEP_4)
	v_dual_sub_f32 v117, v113, v112 :: v_dual_and_b32 v4, 0xff, v3
	v_add_f32_e32 v112, v112, v113
	v_and_b32_e32 v120, 0xff, v0
	v_lshlrev_b32_e32 v0, 3, v2
	v_mul_u32_u24_e32 v2, 0x2493, v65
	ds_store_2addr_b32 v71, v117, v119 offset1:1
	ds_store_2addr_b32 v72, v105, v110 offset1:1
	;; [unrolled: 1-line block ×3, first 2 shown]
	v_lshrrev_b16 v119, 2, v1
	v_mul_lo_u16 v4, v4, 37
	v_mul_u32_u24_e32 v5, 6, v120
	v_lshrrev_b32_e32 v1, 16, v2
	v_mul_lo_u16 v2, v67, 37
	v_mul_lo_u16 v7, v119, 7
	v_lshrrev_b16 v4, 8, v4
	global_wb scope:SCOPE_SE
	s_wait_dscnt 0x0
	v_sub_nc_u16 v6, v142, v1
	v_lshrrev_b16 v2, 8, v2
	v_sub_nc_u16 v7, v141, v7
	s_barrier_signal -1
	s_barrier_wait -1
	v_lshrrev_b16 v6, 1, v6
	v_sub_nc_u16 v68, v66, v2
	v_and_b32_e32 v131, 0xffff, v7
	global_inv scope:SCOPE_SE
	global_load_b128 v[71:74], v0, s[4:5] offset:32
	v_add_nc_u16 v1, v6, v1
	v_lshrrev_b16 v6, 1, v68
	v_sub_nc_u16 v68, v3, v4
	s_delay_alu instid0(VALU_DEP_3) | instskip(NEXT) | instid1(VALU_DEP_3)
	v_lshrrev_b16 v112, 2, v1
	v_and_b32_e32 v1, 0x7f, v6
	s_delay_alu instid0(VALU_DEP_3) | instskip(SKIP_1) | instid1(VALU_DEP_4)
	v_lshrrev_b16 v6, 1, v68
	v_lshrrev_b16 v68, 8, v69
	v_mul_lo_u16 v69, v112, 7
	s_delay_alu instid0(VALU_DEP_4) | instskip(NEXT) | instid1(VALU_DEP_4)
	v_add_nc_u16 v1, v1, v2
	v_and_b32_e32 v2, 0x7f, v6
	s_delay_alu instid0(VALU_DEP_4) | instskip(NEXT) | instid1(VALU_DEP_4)
	v_sub_nc_u16 v6, v52, v68
	v_sub_nc_u16 v7, v142, v69
	s_delay_alu instid0(VALU_DEP_4) | instskip(NEXT) | instid1(VALU_DEP_4)
	v_lshrrev_b16 v157, 2, v1
	v_add_nc_u16 v1, v2, v4
	s_delay_alu instid0(VALU_DEP_4)
	v_lshrrev_b16 v2, 1, v6
	v_mul_u32_u24_e32 v4, 6, v131
	v_and_b32_e32 v118, 0xffff, v7
	v_mul_lo_u16 v6, v157, 7
	v_lshrrev_b16 v161, 2, v1
	v_and_b32_e32 v1, 0x7f, v2
	v_lshlrev_b32_e32 v2, 3, v4
	v_mul_u32_u24_e32 v4, 6, v118
	v_sub_nc_u16 v6, v66, v6
	v_mul_lo_u16 v7, v161, 7
	v_add_nc_u16 v1, v1, v68
	global_load_b128 v[90:93], v2, s[4:5] offset:32
	v_lshlrev_b32_e32 v4, 3, v4
	v_and_b32_e32 v159, 0xff, v6
	v_sub_nc_u16 v3, v3, v7
	v_lshrrev_b16 v164, 2, v1
	global_load_b128 v[94:97], v4, s[4:5] offset:32
	v_lshlrev_b32_e32 v5, 3, v5
	v_and_b32_e32 v162, 0xff, v3
	v_mul_lo_u16 v3, v164, 7
	global_load_b128 v[80:83], v5, s[4:5] offset:32
	v_mul_u32_u24_e32 v6, 6, v162
	v_sub_nc_u16 v3, v52, v3
	s_delay_alu instid0(VALU_DEP_2) | instskip(SKIP_4) | instid1(VALU_DEP_1)
	v_lshlrev_b32_e32 v6, 3, v6
	global_load_b128 v[143:146], v6, s[4:5] offset:32
	s_wait_loadcnt 0x0
	v_mul_f32_e32 v132, v46, v144
	v_mul_u32_u24_e32 v1, 6, v159
	v_lshlrev_b32_e32 v1, 3, v1
	global_load_b128 v[121:124], v1, s[4:5] offset:32
	v_dual_mul_f32 v88, v50, v74 :: v_dual_and_b32 v163, 0xff, v3
	s_delay_alu instid0(VALU_DEP_1) | instskip(NEXT) | instid1(VALU_DEP_1)
	v_mul_u32_u24_e32 v3, 6, v163
	v_lshlrev_b32_e32 v7, 3, v3
	s_clause 0xe
	global_load_b128 v[147:150], v7, s[4:5] offset:32
	global_load_b128 v[151:154], v4, s[4:5] offset:16
	;; [unrolled: 1-line block ×8, first 2 shown]
	global_load_b128 v[189:192], v4, s[4:5]
	global_load_b128 v[193:196], v2, s[4:5]
	;; [unrolled: 1-line block ×7, first 2 shown]
	ds_load_2addr_b32 v[68:69], v115 offset0:70 offset1:119
	ds_load_2addr_b32 v[84:85], v136 offset0:108 offset1:157
	;; [unrolled: 1-line block ×4, first 2 shown]
	v_mul_f32_e32 v87, v58, v72
	v_mul_f32_e32 v79, v59, v81
	;; [unrolled: 1-line block ×4, first 2 shown]
	s_wait_dscnt 0x2
	v_dual_mul_f32 v75, v68, v72 :: v_dual_mul_f32 v72, v85, v74
	v_fmac_f32_e32 v87, v68, v71
	v_fmac_f32_e32 v79, v69, v80
	v_mul_f32_e32 v74, v57, v93
	s_delay_alu instid0(VALU_DEP_4)
	v_fma_f32 v86, v58, v71, -v75
	v_mul_f32_e32 v58, v69, v81
	ds_load_b32 v71, v53 offset:9408
	v_fma_f32 v89, v50, v73, -v72
	s_wait_dscnt 0x2
	v_mul_f32_e32 v50, v102, v83
	v_mul_f32_e32 v81, v56, v83
	v_fma_f32 v78, v59, v80, -v58
	ds_load_2addr_b32 v[58:59], v138 offset0:100 offset1:149
	v_mul_f32_e32 v68, v61, v95
	v_fma_f32 v80, v56, v82, -v50
	v_mul_f32_e32 v50, v103, v93
	s_wait_dscnt 0x2
	v_dual_mul_f32 v56, v104, v91 :: v_dual_mul_f32 v69, v70, v97
	v_fmac_f32_e32 v68, v105, v94
	v_fmac_f32_e32 v88, v85, v73
	v_fma_f32 v76, v57, v92, -v50
	s_delay_alu instid0(VALU_DEP_4)
	v_fma_f32 v75, v60, v90, -v56
	ds_load_2addr_b32 v[56:57], v136 offset0:10 offset1:59
	v_mul_f32_e32 v50, v105, v95
	v_fmac_f32_e32 v74, v103, v92
	v_mul_lo_u16 v67, 0x4f, v67
	s_wait_dscnt 0x2
	v_mul_f32_e32 v72, v71, v97
	v_fma_f32 v60, v61, v94, -v50
	v_fmac_f32_e32 v69, v71, v96
	s_delay_alu instid0(VALU_DEP_3) | instskip(SKIP_4) | instid1(VALU_DEP_2)
	v_fma_f32 v61, v70, v96, -v72
	ds_load_2addr_b32 v[72:73], v116 offset0:130 offset1:179
	s_wait_dscnt 0x2
	v_mul_f32_e32 v71, v58, v144
	v_fmac_f32_e32 v132, v58, v143
	v_fma_f32 v125, v46, v143, -v71
	s_wait_loadcnt_dscnt 0xf01
	v_dual_fmac_f32 v133, v57, v145 :: v_dual_mul_f32 v70, v59, v122
	v_dual_mul_f32 v105, v47, v122 :: v_dual_mul_f32 v50, v84, v124
	s_wait_loadcnt 0xe
	v_mul_f32_e32 v46, v56, v150
	s_wait_loadcnt 0xd
	v_mul_f32_e32 v71, v38, v154
	;; [unrolled: 2-line block ×3, first 2 shown]
	v_fmac_f32_e32 v81, v102, v82
	v_fma_f32 v102, v47, v121, -v70
	v_mul_f32_e32 v47, v57, v146
	v_fma_f32 v108, v49, v123, -v50
	v_fmac_f32_e32 v105, v59, v121
	ds_load_2addr_b32 v[58:59], v116 offset0:32 offset1:81
	s_wait_dscnt 0x1
	v_mul_f32_e32 v70, v72, v154
	v_fma_f32 v129, v43, v145, -v47
	v_mul_f32_e32 v43, v42, v150
	v_mul_f32_e32 v47, v73, v148
	v_fma_f32 v42, v42, v149, -v46
	v_mul_f32_e32 v46, v39, v148
	v_fma_f32 v70, v38, v153, -v70
	v_fmac_f32_e32 v43, v56, v149
	ds_load_2addr_b32 v[56:57], v139 offset0:152 offset1:201
	v_mul_f32_e32 v103, v49, v124
	ds_load_2addr_b32 v[49:50], v107 offset0:122 offset1:171
	v_fma_f32 v39, v39, v147, -v47
	v_dual_fmac_f32 v46, v73, v147 :: v_dual_fmac_f32 v71, v72, v153
	s_wait_loadcnt 0x6
	v_dual_mul_f32 v92, v31, v190 :: v_dual_mul_f32 v73, v45, v152
	v_mul_f32_e32 v83, v44, v166
	s_wait_loadcnt 0x5
	v_dual_mul_f32 v100, v30, v194 :: v_dual_mul_f32 v85, v41, v168
	s_wait_loadcnt 0x3
	v_mul_f32_e32 v144, v24, v202
	v_mul_f32_e32 v95, v40, v172
	s_wait_loadcnt 0x1
	v_dual_mul_f32 v158, v20, v1 :: v_dual_mul_f32 v117, v35, v176
	v_mul_f32_e32 v122, v34, v180
	v_mul_f32_e32 v130, v33, v178
	;; [unrolled: 1-line block ×3, first 2 shown]
	v_dual_mul_f32 v160, v17, v3 :: v_dual_mul_f32 v109, v27, v196
	v_mul_f32_e32 v155, v21, v206
	s_wait_dscnt 0x2
	v_dual_fmac_f32 v85, v59, v167 :: v_dual_mul_f32 v124, v25, v198
	s_wait_dscnt 0x0
	v_dual_mul_f32 v47, v50, v152 :: v_dual_mul_f32 v38, v49, v166
	v_dual_mul_f32 v153, v22, v208 :: v_dual_fmac_f32 v96, v57, v169
	s_delay_alu instid0(VALU_DEP_2) | instskip(SKIP_1) | instid1(VALU_DEP_4)
	v_fma_f32 v72, v45, v151, -v47
	v_mul_f32_e32 v45, v59, v168
	v_fma_f32 v82, v44, v165, -v38
	v_dual_mul_f32 v38, v58, v172 :: v_dual_fmac_f32 v77, v104, v90
	ds_load_2addr_b32 v[90:91], v135 offset0:190 offset1:239
	v_mul_f32_e32 v104, v36, v174
	v_mul_f32_e32 v47, v57, v170
	v_fma_f32 v94, v40, v171, -v38
	v_mul_f32_e32 v38, v56, v174
	s_delay_alu instid0(VALU_DEP_4)
	v_fmac_f32_e32 v104, v56, v173
	v_fmac_f32_e32 v103, v84, v123
	v_fma_f32 v84, v41, v167, -v45
	ds_load_2addr_b32 v[44:45], v139 offset0:54 offset1:103
	v_fma_f32 v97, v37, v169, -v47
	ds_load_2addr_b32 v[40:41], v135 offset0:92 offset1:141
	v_fma_f32 v110, v36, v173, -v38
	v_mul_f32_e32 v123, v26, v200
	s_wait_dscnt 0x2
	v_dual_mul_f32 v37, v91, v176 :: v_dual_fmac_f32 v122, v90, v179
	s_delay_alu instid0(VALU_DEP_1)
	v_fma_f32 v111, v35, v175, -v37
	v_mul_f32_e32 v37, v90, v180
	ds_load_2addr_b32 v[35:36], v106 offset0:84 offset1:133
	v_mul_f32_e32 v90, v18, v192
	s_wait_dscnt 0x2
	v_mul_f32_e32 v38, v45, v178
	v_fmac_f32_e32 v130, v45, v177
	v_fma_f32 v127, v34, v179, -v37
	s_wait_dscnt 0x1
	v_mul_f32_e32 v34, v41, v184
	v_fmac_f32_e32 v148, v44, v181
	v_fma_f32 v128, v33, v177, -v38
	ds_load_2addr_b32 v[37:38], v134 offset0:76 offset1:125
	v_mul_f32_e32 v33, v44, v182
	v_fma_f32 v150, v29, v183, -v34
	ds_load_2addr_b32 v[44:45], v126 offset0:114 offset1:163
	v_fma_f32 v149, v32, v181, -v33
	v_dual_mul_f32 v32, v40, v188 :: v_dual_mul_f32 v33, v19, v186
	s_wait_dscnt 0x2
	v_dual_mul_f32 v34, v36, v186 :: v_dual_mul_f32 v47, v35, v192
	s_delay_alu instid0(VALU_DEP_2)
	v_dual_fmac_f32 v90, v35, v191 :: v_dual_fmac_f32 v33, v36, v185
	s_wait_dscnt 0x1
	v_fmac_f32_e32 v92, v38, v189
	v_dual_fmac_f32 v73, v50, v151 :: v_dual_fmac_f32 v100, v37, v193
	v_mul_f32_e32 v151, v29, v184
	v_mul_f32_e32 v29, v28, v188
	v_fma_f32 v28, v28, v187, -v32
	v_fma_f32 v32, v19, v185, -v34
	v_mul_f32_e32 v34, v37, v194
	v_fmac_f32_e32 v151, v41, v183
	v_fmac_f32_e32 v29, v40, v187
	ds_load_2addr_b32 v[40:41], v114 offset0:106 offset1:155
	v_mul_f32_e32 v19, v38, v190
	v_fma_f32 v98, v30, v193, -v34
	ds_load_2addr_b32 v[34:35], v137 offset0:136 offset1:185
	v_fmac_f32_e32 v117, v91, v175
	v_fma_f32 v91, v18, v191, -v47
	v_fma_f32 v93, v31, v189, -v19
	s_wait_dscnt 0x2
	v_mul_f32_e32 v18, v45, v196
	ds_load_2addr_b32 v[30:31], v126 offset0:16 offset1:65
	v_mul_f32_e32 v19, v44, v200
	v_fmac_f32_e32 v83, v49, v165
	v_fma_f32 v113, v27, v195, -v18
	s_delay_alu instid0(VALU_DEP_3)
	v_fma_f32 v121, v26, v199, -v19
	ds_load_2addr_b32 v[18:19], v137 offset0:38 offset1:87
	ds_load_2addr_b32 v[26:27], v134 offset0:174 offset1:223
	;; [unrolled: 1-line block ×4, first 2 shown]
	s_wait_dscnt 0x6
	v_dual_mul_f32 v36, v41, v198 :: v_dual_fmac_f32 v95, v58, v171
	v_fmac_f32_e32 v124, v41, v197
	s_wait_dscnt 0x5
	v_fmac_f32_e32 v158, v34, v0
	ds_load_2addr_b32 v[58:59], v53 offset1:49
	v_fma_f32 v143, v25, v197, -v36
	v_mul_f32_e32 v36, v35, v206
	global_wb scope:SCOPE_SE
	s_wait_loadcnt_dscnt 0x0
	s_barrier_signal -1
	s_barrier_wait -1
	global_inv scope:SCOPE_SE
	v_fma_f32 v154, v21, v205, -v36
	v_mul_f32_e32 v21, v34, v1
	v_fmac_f32_e32 v144, v40, v201
	v_mul_f32_e32 v1, v19, v5
	v_dual_mul_f32 v5, v9, v5 :: v_dual_fmac_f32 v160, v27, v2
	s_delay_alu instid0(VALU_DEP_4) | instskip(SKIP_1) | instid1(VALU_DEP_4)
	v_fma_f32 v156, v20, v0, -v21
	v_dual_mul_f32 v25, v30, v208 :: v_dual_mul_f32 v20, v27, v3
	v_fma_f32 v0, v9, v4, -v1
	v_mul_f32_e32 v3, v16, v7
	v_and_b32_e32 v9, 0xffff, v164
	s_delay_alu instid0(VALU_DEP_4)
	v_fma_f32 v152, v22, v207, -v25
	v_mul_f32_e32 v22, v26, v7
	v_fma_f32 v164, v17, v2, -v20
	v_fmac_f32_e32 v5, v19, v4
	v_mul_u32_u24_e32 v4, 0xc4, v9
	v_sub_f32_e32 v38, v0, v42
	v_fma_f32 v1, v16, v6, -v22
	v_add_f32_e32 v17, v164, v125
	v_dual_fmac_f32 v3, v26, v6 :: v_dual_add_f32 v6, v32, v28
	s_delay_alu instid0(VALU_DEP_3) | instskip(NEXT) | instid1(VALU_DEP_2)
	v_dual_add_f32 v7, v0, v42 :: v_dual_add_f32 v16, v1, v39
	v_dual_sub_f32 v22, v5, v43 :: v_dual_sub_f32 v9, v3, v46
	v_dual_sub_f32 v125, v164, v125 :: v_dual_lshlrev_b32 v26, 2, v163
	s_delay_alu instid0(VALU_DEP_3) | instskip(NEXT) | instid1(VALU_DEP_2)
	v_add_f32_e32 v21, v16, v7
	v_add3_u32 v163, 0, v4, v26
	s_delay_alu instid0(VALU_DEP_2) | instskip(NEXT) | instid1(VALU_DEP_1)
	v_dual_sub_f32 v4, v9, v22 :: v_dual_add_f32 v21, v6, v21
	v_dual_add_f32 v14, v14, v21 :: v_dual_fmac_f32 v109, v45, v195
	s_delay_alu instid0(VALU_DEP_1) | instskip(SKIP_2) | instid1(VALU_DEP_2)
	v_fmamk_f32 v21, v21, 0xbf955555, v14
	v_mul_f32_e32 v37, v40, v202
	v_mul_f32_e32 v147, v23, v204
	v_fma_f32 v145, v24, v201, -v37
	v_dual_mul_f32 v24, v31, v204 :: v_dual_sub_f32 v37, v1, v39
	v_sub_f32_e32 v1, v28, v32
	s_delay_alu instid0(VALU_DEP_2) | instskip(SKIP_3) | instid1(VALU_DEP_2)
	v_fma_f32 v146, v23, v203, -v24
	v_dual_sub_f32 v23, v7, v6 :: v_dual_sub_f32 v6, v6, v16
	v_sub_f32_e32 v19, v29, v33
	v_fmac_f32_e32 v123, v44, v199
	v_dual_mul_f32 v23, 0x3f4a47b2, v23 :: v_dual_sub_f32 v24, v19, v9
	v_add_f32_e32 v25, v19, v9
	v_mul_f32_e32 v9, 0x3f5ff5aa, v4
	s_delay_alu instid0(VALU_DEP_3) | instskip(NEXT) | instid1(VALU_DEP_3)
	v_dual_sub_f32 v19, v22, v19 :: v_dual_mul_f32 v24, 0xbf08b237, v24
	v_add_f32_e32 v25, v25, v22
	v_add_f32_e32 v22, v149, v150
	s_delay_alu instid0(VALU_DEP_3) | instskip(SKIP_2) | instid1(VALU_DEP_3)
	v_fma_f32 v9, 0xbeae86e6, v19, -v9
	v_sub_f32_e32 v149, v150, v149
	v_fma_f32 v4, 0x3f5ff5aa, v4, -v24
	v_fmac_f32_e32 v9, 0x3ee1c552, v25
	s_delay_alu instid0(VALU_DEP_2) | instskip(SKIP_3) | instid1(VALU_DEP_3)
	v_dual_fmac_f32 v4, 0x3ee1c552, v25 :: v_dual_fmac_f32 v153, v30, v207
	v_dual_fmamk_f32 v30, v6, 0x3d64c772, v23 :: v_dual_sub_f32 v7, v16, v7
	v_mul_f32_e32 v6, 0x3d64c772, v6
	v_add_f32_e32 v16, v156, v129
	v_add_f32_e32 v2, v30, v21
	s_delay_alu instid0(VALU_DEP_3) | instskip(SKIP_1) | instid1(VALU_DEP_2)
	v_fma_f32 v6, 0x3f3bfb3b, v7, -v6
	v_fma_f32 v7, 0xbf3bfb3b, v7, -v23
	v_dual_add_f32 v23, v17, v16 :: v_dual_add_f32 v6, v6, v21
	v_fmac_f32_e32 v147, v31, v203
	v_fmamk_f32 v31, v19, 0x3eae86e6, v24
	s_delay_alu instid0(VALU_DEP_4) | instskip(NEXT) | instid1(VALU_DEP_4)
	v_add_f32_e32 v7, v7, v21
	v_dual_sub_f32 v21, v6, v4 :: v_dual_add_f32 v4, v4, v6
	s_delay_alu instid0(VALU_DEP_2) | instskip(SKIP_2) | instid1(VALU_DEP_3)
	v_dual_fmac_f32 v31, 0x3ee1c552, v25 :: v_dual_add_f32 v20, v9, v7
	v_dual_sub_f32 v6, v7, v9 :: v_dual_add_f32 v7, v22, v23
	v_sub_f32_e32 v9, v160, v132
	v_dual_add_f32 v19, v31, v2 :: v_dual_sub_f32 v2, v2, v31
	v_dual_add_f32 v132, v160, v132 :: v_dual_lshlrev_b32 v25, 2, v159
	ds_store_2addr_b32 v163, v14, v19 offset1:7
	ds_store_2addr_b32 v163, v20, v21 offset0:14 offset1:21
	ds_store_2addr_b32 v163, v4, v6 offset0:28 offset1:35
	v_and_b32_e32 v4, 0xffff, v161
	v_add_f32_e32 v6, v15, v7
	v_dual_sub_f32 v14, v151, v148 :: v_dual_sub_f32 v15, v16, v22
	v_lshlrev_b32_e32 v19, 2, v162
	s_delay_alu instid0(VALU_DEP_4) | instskip(SKIP_1) | instid1(VALU_DEP_4)
	v_mul_u32_u24_e32 v4, 0xc4, v4
	v_sub_f32_e32 v20, v158, v133
	v_sub_f32_e32 v21, v14, v9
	;; [unrolled: 1-line block ×3, first 2 shown]
	v_add_f32_e32 v23, v14, v9
	v_add3_u32 v161, 0, v4, v19
	v_sub_f32_e32 v9, v9, v20
	v_add_f32_e32 v19, v152, v102
	v_mul_f32_e32 v15, 0x3f4a47b2, v15
	v_dual_fmac_f32 v155, v35, v205 :: v_dual_sub_f32 v14, v20, v14
	v_mul_f32_e32 v21, 0xbf08b237, v21
	v_fmamk_f32 v7, v7, 0xbf955555, v6
	s_delay_alu instid0(VALU_DEP_4) | instskip(SKIP_2) | instid1(VALU_DEP_3)
	v_fmamk_f32 v24, v22, 0x3d64c772, v15
	v_dual_sub_f32 v16, v17, v16 :: v_dual_mul_f32 v17, 0x3d64c772, v22
	v_mul_f32_e32 v22, 0x3f5ff5aa, v9
	v_dual_add_f32 v20, v23, v20 :: v_dual_add_f32 v23, v24, v7
	v_fmamk_f32 v24, v14, 0x3eae86e6, v21
	s_delay_alu instid0(VALU_DEP_4)
	v_fma_f32 v17, 0x3f3bfb3b, v16, -v17
	v_fma_f32 v15, 0xbf3bfb3b, v16, -v15
	;; [unrolled: 1-line block ×4, first 2 shown]
	v_fmac_f32_e32 v24, 0x3ee1c552, v20
	v_add_f32_e32 v16, v17, v7
	s_delay_alu instid0(VALU_DEP_4) | instskip(NEXT) | instid1(VALU_DEP_4)
	v_dual_add_f32 v7, v15, v7 :: v_dual_fmac_f32 v14, 0x3ee1c552, v20
	v_fmac_f32_e32 v9, 0x3ee1c552, v20
	ds_store_b32 v163, v2 offset:168
	v_dual_add_f32 v2, v24, v23 :: v_dual_add_f32 v17, v154, v108
	v_dual_add_f32 v4, v14, v7 :: v_dual_sub_f32 v15, v16, v9
	v_add_f32_e32 v9, v9, v16
	v_sub_f32_e32 v7, v7, v14
	ds_store_2addr_b32 v161, v6, v2 offset1:7
	ds_store_2addr_b32 v161, v4, v15 offset0:14 offset1:21
	ds_store_2addr_b32 v161, v9, v7 offset0:28 offset1:35
	v_dual_sub_f32 v4, v153, v105 :: v_dual_sub_f32 v7, v122, v130
	v_add_f32_e32 v2, v128, v127
	v_sub_f32_e32 v14, v155, v103
	v_add_f32_e32 v6, v19, v17
	s_delay_alu instid0(VALU_DEP_4) | instskip(NEXT) | instid1(VALU_DEP_4)
	v_dual_sub_f32 v15, v7, v4 :: v_dual_and_b32 v20, 0xffff, v157
	v_dual_sub_f32 v9, v17, v2 :: v_dual_add_f32 v16, v7, v4
	s_delay_alu instid0(VALU_DEP_4) | instskip(NEXT) | instid1(VALU_DEP_3)
	v_dual_sub_f32 v7, v14, v7 :: v_dual_sub_f32 v4, v4, v14
	v_dual_mul_f32 v15, 0xbf08b237, v15 :: v_dual_add_f32 v6, v2, v6
	v_sub_f32_e32 v2, v2, v19
	s_delay_alu instid0(VALU_DEP_4) | instskip(SKIP_1) | instid1(VALU_DEP_4)
	v_add_f32_e32 v16, v16, v14
	v_sub_f32_e32 v14, v19, v17
	v_fmamk_f32 v22, v7, 0x3eae86e6, v15
	v_mul_f32_e32 v19, 0x3f5ff5aa, v4
	v_fma_f32 v4, 0x3f5ff5aa, v4, -v15
	v_add_f32_e32 v15, v146, v86
	v_dual_mul_f32 v9, 0x3f4a47b2, v9 :: v_dual_add_f32 v12, v12, v6
	s_delay_alu instid0(VALU_DEP_4) | instskip(SKIP_2) | instid1(VALU_DEP_4)
	v_fma_f32 v7, 0xbeae86e6, v7, -v19
	v_mul_u32_u24_e32 v20, 0xc4, v20
	v_fmac_f32_e32 v22, 0x3ee1c552, v16
	v_dual_fmamk_f32 v21, v2, 0x3d64c772, v9 :: v_dual_mul_f32 v2, 0x3d64c772, v2
	v_fmamk_f32 v6, v6, 0xbf955555, v12
	v_fma_f32 v9, 0xbf3bfb3b, v14, -v9
	v_fmac_f32_e32 v7, 0x3ee1c552, v16
	v_fmac_f32_e32 v4, 0x3ee1c552, v16
	v_fma_f32 v2, 0x3f3bfb3b, v14, -v2
	v_add_f32_e32 v14, v145, v89
	v_add_f32_e32 v21, v21, v6
	v_sub_f32_e32 v17, v23, v24
	v_add3_u32 v157, 0, v20, v25
	v_add_f32_e32 v2, v2, v6
	v_dual_add_f32 v6, v9, v6 :: v_dual_add_f32 v9, v110, v111
	v_dual_add_f32 v19, v15, v14 :: v_dual_add_f32 v20, v22, v21
	ds_store_b32 v161, v17 offset:168
	ds_store_2addr_b32 v157, v12, v20 offset1:7
	v_add_f32_e32 v16, v9, v19
	v_add_f32_e32 v12, v7, v6
	v_dual_sub_f32 v6, v6, v7 :: v_dual_sub_f32 v19, v117, v104
	s_delay_alu instid0(VALU_DEP_3) | instskip(SKIP_1) | instid1(VALU_DEP_2)
	v_dual_sub_f32 v20, v14, v9 :: v_dual_add_f32 v7, v13, v16
	v_dual_sub_f32 v13, v147, v87 :: v_dual_sub_f32 v24, v144, v88
	v_dual_sub_f32 v9, v9, v15 :: v_dual_mul_f32 v20, 0x3f4a47b2, v20
	s_delay_alu instid0(VALU_DEP_2) | instskip(NEXT) | instid1(VALU_DEP_3)
	v_dual_fmamk_f32 v16, v16, 0xbf955555, v7 :: v_dual_sub_f32 v25, v19, v13
	v_dual_add_f32 v26, v19, v13 :: v_dual_sub_f32 v13, v13, v24
	v_sub_f32_e32 v19, v24, v19
	s_delay_alu instid0(VALU_DEP_4) | instskip(NEXT) | instid1(VALU_DEP_4)
	v_fmamk_f32 v27, v9, 0x3d64c772, v20
	v_dual_mul_f32 v25, 0xbf08b237, v25 :: v_dual_sub_f32 v14, v15, v14
	v_mul_f32_e32 v9, 0x3d64c772, v9
	v_dual_add_f32 v15, v26, v24 :: v_dual_mul_f32 v24, 0x3f5ff5aa, v13
	v_dual_sub_f32 v17, v2, v4 :: v_dual_add_f32 v2, v4, v2
	v_and_b32_e32 v4, 0xffff, v99
	v_add_f32_e32 v26, v27, v16
	v_fmamk_f32 v27, v19, 0x3eae86e6, v25
	v_fma_f32 v9, 0x3f3bfb3b, v14, -v9
	v_fma_f32 v14, 0xbf3bfb3b, v14, -v20
	;; [unrolled: 1-line block ×4, first 2 shown]
	v_mul_u32_u24_e32 v4, 0xc4, v4
	v_lshlrev_b32_e32 v23, 2, v101
	v_fmac_f32_e32 v27, 0x3ee1c552, v15
	v_add_f32_e32 v9, v9, v16
	v_dual_add_f32 v14, v14, v16 :: v_dual_fmac_f32 v19, 0x3ee1c552, v15
	v_fmac_f32_e32 v13, 0x3ee1c552, v15
	v_sub_f32_e32 v15, v21, v22
	v_add3_u32 v101, 0, v4, v23
	v_add_f32_e32 v4, v27, v26
	v_add_f32_e32 v16, v19, v14
	v_sub_f32_e32 v20, v9, v13
	ds_store_2addr_b32 v157, v12, v17 offset0:14 offset1:21
	ds_store_2addr_b32 v157, v2, v6 offset0:28 offset1:35
	ds_store_b32 v157, v15 offset:168
	ds_store_2addr_b32 v101, v7, v4 offset1:7
	ds_store_2addr_b32 v101, v16, v20 offset0:14 offset1:21
	v_add_f32_e32 v2, v13, v9
	v_and_b32_e32 v4, 0xffff, v48
	v_dual_sub_f32 v6, v14, v19 :: v_dual_add_f32 v9, v143, v80
	v_dual_add_f32 v12, v121, v78 :: v_dual_lshlrev_b32 v13, 2, v120
	s_delay_alu instid0(VALU_DEP_3)
	v_mul_u32_u24_e32 v4, 0xc4, v4
	ds_store_2addr_b32 v101, v2, v6 offset0:28 offset1:35
	v_add_f32_e32 v2, v97, v94
	v_add_f32_e32 v6, v12, v9
	v_sub_f32_e32 v14, v124, v81
	v_add3_u32 v120, 0, v4, v13
	s_delay_alu instid0(VALU_DEP_4) | instskip(NEXT) | instid1(VALU_DEP_4)
	v_dual_sub_f32 v4, v123, v79 :: v_dual_sub_f32 v13, v9, v2
	v_add_f32_e32 v6, v2, v6
	v_dual_sub_f32 v2, v2, v12 :: v_dual_sub_f32 v9, v12, v9
	s_delay_alu instid0(VALU_DEP_3) | instskip(NEXT) | instid1(VALU_DEP_3)
	v_dual_add_f32 v44, v3, v46 :: v_dual_mul_f32 v13, 0x3f4a47b2, v13
	v_dual_add_f32 v10, v10, v6 :: v_dual_add_f32 v43, v5, v43
	v_dual_add_f32 v148, v148, v151 :: v_dual_add_f32 v133, v158, v133
	s_delay_alu instid0(VALU_DEP_3) | instskip(NEXT) | instid1(VALU_DEP_3)
	v_fmamk_f32 v17, v2, 0x3d64c772, v13
	v_fmamk_f32 v6, v6, 0xbf955555, v10
	v_mul_f32_e32 v2, 0x3d64c772, v2
	v_sub_f32_e32 v102, v152, v102
	v_sub_f32_e32 v150, v133, v148
	s_delay_alu instid0(VALU_DEP_4)
	v_dual_add_f32 v88, v144, v88 :: v_dual_add_f32 v17, v17, v6
	v_sub_f32_e32 v7, v26, v27
	v_fma_f32 v2, 0x3f3bfb3b, v9, -v2
	v_fma_f32 v9, 0xbf3bfb3b, v9, -v13
	v_dual_add_f32 v13, v113, v75 :: v_dual_mul_f32 v150, 0x3f4a47b2, v150
	ds_store_b32 v101, v7 offset:168
	v_dual_sub_f32 v7, v95, v96 :: v_dual_add_f32 v2, v2, v6
	v_dual_add_f32 v6, v9, v6 :: v_dual_add_f32 v9, v98, v76
	v_add_f32_e32 v151, v132, v133
	s_delay_alu instid0(VALU_DEP_3) | instskip(SKIP_3) | instid1(VALU_DEP_3)
	v_sub_f32_e32 v15, v7, v4
	v_add_f32_e32 v16, v7, v4
	v_dual_sub_f32 v4, v4, v14 :: v_dual_sub_f32 v7, v14, v7
	v_add_f32_e32 v19, v13, v9
	v_dual_mul_f32 v15, 0xbf08b237, v15 :: v_dual_add_f32 v12, v16, v14
	s_delay_alu instid0(VALU_DEP_3) | instskip(SKIP_1) | instid1(VALU_DEP_3)
	v_dual_mul_f32 v14, 0x3f5ff5aa, v4 :: v_dual_add_f32 v87, v147, v87
	v_dual_sub_f32 v89, v145, v89 :: v_dual_sub_f32 v86, v146, v86
	v_fmamk_f32 v16, v7, 0x3eae86e6, v15
	s_delay_alu instid0(VALU_DEP_3) | instskip(SKIP_2) | instid1(VALU_DEP_4)
	v_fma_f32 v7, 0xbeae86e6, v7, -v14
	v_fma_f32 v4, 0x3f5ff5aa, v4, -v15
	v_dual_add_f32 v15, v82, v84 :: v_dual_add_f32 v104, v104, v117
	v_fmac_f32_e32 v16, 0x3ee1c552, v12
	s_delay_alu instid0(VALU_DEP_4) | instskip(NEXT) | instid1(VALU_DEP_4)
	v_fmac_f32_e32 v7, 0x3ee1c552, v12
	v_fmac_f32_e32 v4, 0x3ee1c552, v12
	v_sub_f32_e32 v110, v111, v110
	s_delay_alu instid0(VALU_DEP_4) | instskip(NEXT) | instid1(VALU_DEP_4)
	v_dual_add_f32 v117, v87, v88 :: v_dual_add_f32 v12, v16, v17
	v_add_f32_e32 v14, v7, v6
	s_delay_alu instid0(VALU_DEP_4)
	v_sub_f32_e32 v20, v2, v4
	v_add_f32_e32 v2, v4, v2
	v_sub_f32_e32 v4, v6, v7
	v_add_f32_e32 v6, v15, v19
	v_and_b32_e32 v7, 0xffff, v119
	ds_store_2addr_b32 v120, v10, v12 offset1:7
	ds_store_2addr_b32 v120, v14, v20 offset0:14 offset1:21
	ds_store_2addr_b32 v120, v2, v4 offset0:28 offset1:35
	v_lshlrev_b32_e32 v10, 2, v131
	v_add_f32_e32 v4, v11, v6
	v_mul_u32_u24_e32 v7, 0xc4, v7
	v_sub_f32_e32 v11, v109, v77
	v_sub_f32_e32 v12, v85, v83
	;; [unrolled: 1-line block ×3, first 2 shown]
	v_fmamk_f32 v6, v6, 0xbf955555, v4
	v_sub_f32_e32 v2, v17, v16
	v_add3_u32 v119, 0, v7, v10
	v_sub_f32_e32 v10, v12, v11
	v_sub_f32_e32 v7, v100, v74
	v_sub_f32_e32 v111, v87, v88
	ds_store_b32 v120, v2 offset:168
	v_dual_sub_f32 v87, v104, v87 :: v_dual_mul_f32 v10, 0xbf08b237, v10
	v_sub_f32_e32 v2, v9, v15
	v_dual_sub_f32 v88, v88, v104 :: v_dual_add_f32 v79, v123, v79
	v_add_f32_e32 v81, v124, v81
	v_dual_add_f32 v95, v96, v95 :: v_dual_sub_f32 v78, v121, v78
	s_delay_alu instid0(VALU_DEP_4) | instskip(SKIP_1) | instid1(VALU_DEP_4)
	v_mul_f32_e32 v2, 0x3f4a47b2, v2
	v_sub_f32_e32 v94, v94, v97
	v_add_f32_e32 v96, v79, v81
	v_sub_f32_e32 v80, v143, v80
	s_delay_alu instid0(VALU_DEP_4) | instskip(SKIP_3) | instid1(VALU_DEP_4)
	v_dual_sub_f32 v97, v79, v81 :: v_dual_fmamk_f32 v16, v14, 0x3d64c772, v2
	v_sub_f32_e32 v9, v13, v9
	v_mul_f32_e32 v13, 0x3d64c772, v14
	v_sub_f32_e32 v81, v81, v95
	v_dual_sub_f32 v79, v95, v79 :: v_dual_add_f32 v16, v16, v6
	s_delay_alu instid0(VALU_DEP_4) | instskip(NEXT) | instid1(VALU_DEP_4)
	v_fma_f32 v2, 0xbf3bfb3b, v9, -v2
	v_fma_f32 v13, 0x3f3bfb3b, v9, -v13
	v_dual_add_f32 v95, v95, v96 :: v_dual_add_f32 v96, v94, v78
	s_delay_alu instid0(VALU_DEP_3) | instskip(SKIP_4) | instid1(VALU_DEP_4)
	v_dual_mul_f32 v81, 0x3f4a47b2, v81 :: v_dual_add_f32 v2, v2, v6
	v_add_f32_e32 v15, v12, v11
	v_sub_f32_e32 v11, v11, v7
	v_sub_f32_e32 v12, v7, v12
	v_dual_add_f32 v74, v100, v74 :: v_dual_add_f32 v83, v83, v85
	v_add_f32_e32 v7, v15, v7
	s_delay_alu instid0(VALU_DEP_4) | instskip(NEXT) | instid1(VALU_DEP_4)
	v_mul_f32_e32 v14, 0x3f5ff5aa, v11
	v_fmamk_f32 v15, v12, 0x3eae86e6, v10
	v_dual_add_f32 v77, v109, v77 :: v_dual_sub_f32 v76, v98, v76
	v_sub_f32_e32 v75, v113, v75
	s_delay_alu instid0(VALU_DEP_4) | instskip(NEXT) | instid1(VALU_DEP_4)
	v_fma_f32 v9, 0xbeae86e6, v12, -v14
	v_dual_fmac_f32 v15, 0x3ee1c552, v7 :: v_dual_add_f32 v12, v91, v60
	v_add_f32_e32 v14, v72, v70
	v_fma_f32 v10, 0x3f5ff5aa, v11, -v10
	v_add_f32_e32 v11, v13, v6
	v_dual_fmac_f32 v9, 0x3ee1c552, v7 :: v_dual_add_f32 v6, v93, v61
	s_delay_alu instid0(VALU_DEP_3) | instskip(SKIP_1) | instid1(VALU_DEP_3)
	v_dual_add_f32 v85, v77, v74 :: v_dual_fmac_f32 v10, 0x3ee1c552, v7
	v_add_f32_e32 v7, v15, v16
	v_dual_add_f32 v13, v9, v2 :: v_dual_sub_f32 v2, v2, v9
	v_sub_f32_e32 v9, v71, v73
	v_add_f32_e32 v17, v12, v6
	ds_store_2addr_b32 v119, v4, v7 offset1:7
	v_sub_f32_e32 v82, v84, v82
	v_sub_f32_e32 v84, v77, v74
	;; [unrolled: 1-line block ×3, first 2 shown]
	v_add_f32_e32 v4, v14, v17
	v_sub_f32_e32 v77, v83, v77
	v_add_f32_e32 v83, v83, v85
	v_add_f32_e32 v85, v82, v75
	s_delay_alu instid0(VALU_DEP_4) | instskip(SKIP_1) | instid1(VALU_DEP_4)
	v_dual_sub_f32 v61, v93, v61 :: v_dual_add_f32 v8, v8, v4
	v_add_f32_e32 v71, v73, v71
	v_add_f32_e32 v50, v50, v83
	v_sub_f32_e32 v60, v91, v60
	v_sub_f32_e32 v70, v70, v72
	v_dual_fmamk_f32 v4, v4, 0xbf955555, v8 :: v_dual_sub_f32 v19, v11, v10
	v_add_f32_e32 v10, v10, v11
	v_sub_f32_e32 v11, v6, v14
	v_dual_sub_f32 v14, v14, v12 :: v_dual_sub_f32 v7, v16, v15
	ds_store_2addr_b32 v119, v13, v19 offset0:14 offset1:21
	ds_store_2addr_b32 v119, v10, v2 offset0:28 offset1:35
	v_dual_sub_f32 v13, v92, v69 :: v_dual_and_b32 v2, 0xffff, v112
	v_sub_f32_e32 v6, v12, v6
	v_mul_f32_e32 v12, 0x3d64c772, v14
	ds_store_b32 v119, v7 offset:168
	v_sub_f32_e32 v7, v90, v68
	v_mul_u32_u24_e32 v2, 0xc4, v2
	v_lshlrev_b32_e32 v10, 2, v118
	v_fma_f32 v12, 0x3f3bfb3b, v6, -v12
	v_fmamk_f32 v83, v83, 0xbf955555, v50
	v_sub_f32_e32 v15, v9, v7
	v_dual_add_f32 v16, v9, v7 :: v_dual_sub_f32 v7, v7, v13
	v_sub_f32_e32 v9, v13, v9
	v_add3_u32 v112, 0, v2, v10
	v_add_f32_e32 v69, v92, v69
	s_delay_alu instid0(VALU_DEP_4) | instskip(SKIP_2) | instid1(VALU_DEP_2)
	v_add_f32_e32 v16, v16, v13
	v_mul_f32_e32 v2, 0x3f5ff5aa, v7
	v_add_f32_e32 v68, v90, v68
	v_fma_f32 v2, 0xbeae86e6, v9, -v2
	s_delay_alu instid0(VALU_DEP_2) | instskip(SKIP_2) | instid1(VALU_DEP_4)
	v_add_f32_e32 v73, v68, v69
	v_dual_sub_f32 v72, v68, v69 :: v_dual_sub_f32 v69, v69, v71
	v_sub_f32_e32 v68, v71, v68
	v_fmac_f32_e32 v2, 0x3ee1c552, v16
	v_mul_f32_e32 v11, 0x3f4a47b2, v11
	v_add_f32_e32 v71, v71, v73
	v_add_f32_e32 v73, v70, v60
	v_mul_f32_e32 v69, 0x3f4a47b2, v69
	s_delay_alu instid0(VALU_DEP_4) | instskip(SKIP_2) | instid1(VALU_DEP_3)
	v_fmamk_f32 v17, v14, 0x3d64c772, v11
	v_fma_f32 v6, 0xbf3bfb3b, v6, -v11
	v_add_f32_e32 v11, v12, v4
	v_add_f32_e32 v10, v17, v4
	s_delay_alu instid0(VALU_DEP_3) | instskip(NEXT) | instid1(VALU_DEP_1)
	v_add_f32_e32 v4, v6, v4
	v_dual_add_f32 v3, v2, v4 :: v_dual_sub_f32 v2, v4, v2
	v_mul_f32_e32 v15, 0xbf08b237, v15
	s_delay_alu instid0(VALU_DEP_1) | instskip(NEXT) | instid1(VALU_DEP_1)
	v_fma_f32 v7, 0x3f5ff5aa, v7, -v15
	v_fmac_f32_e32 v7, 0x3ee1c552, v16
	s_delay_alu instid0(VALU_DEP_1) | instskip(SKIP_1) | instid1(VALU_DEP_1)
	v_sub_f32_e32 v5, v11, v7
	v_dual_add_f32 v6, v7, v11 :: v_dual_add_f32 v7, v33, v29
	v_dual_fmamk_f32 v13, v9, 0x3eae86e6, v15 :: v_dual_sub_f32 v4, v43, v7
	s_delay_alu instid0(VALU_DEP_1) | instskip(SKIP_1) | instid1(VALU_DEP_3)
	v_fmac_f32_e32 v13, 0x3ee1c552, v16
	v_sub_f32_e32 v118, v7, v44
	v_mul_f32_e32 v159, 0x3f4a47b2, v4
	s_delay_alu instid0(VALU_DEP_3) | instskip(SKIP_2) | instid1(VALU_DEP_1)
	v_add_f32_e32 v9, v13, v10
	ds_store_2addr_b32 v112, v8, v9 offset1:7
	v_add_f32_e32 v8, v44, v43
	v_add_f32_e32 v0, v7, v8
	s_delay_alu instid0(VALU_DEP_1) | instskip(NEXT) | instid1(VALU_DEP_1)
	v_add_f32_e32 v58, v58, v0
	v_fmamk_f32 v166, v0, 0xbf955555, v58
	v_fmamk_f32 v0, v118, 0x3d64c772, v159
	v_sub_f32_e32 v170, v44, v43
	v_mul_f32_e32 v118, 0x3d64c772, v118
	s_delay_alu instid0(VALU_DEP_3) | instskip(NEXT) | instid1(VALU_DEP_2)
	v_dual_add_f32 v168, v0, v166 :: v_dual_sub_f32 v131, v38, v1
	v_fma_f32 v118, 0x3f3bfb3b, v170, -v118
	v_fma_f32 v159, 0xbf3bfb3b, v170, -v159
	s_delay_alu instid0(VALU_DEP_2) | instskip(SKIP_2) | instid1(VALU_DEP_3)
	v_dual_add_f32 v118, v118, v166 :: v_dual_sub_f32 v7, v1, v37
	v_add_f32_e32 v8, v1, v37
	v_sub_f32_e32 v169, v37, v38
	v_dual_add_f32 v159, v159, v166 :: v_dual_mul_f32 v162, 0xbf08b237, v7
	s_delay_alu instid0(VALU_DEP_3) | instskip(NEXT) | instid1(VALU_DEP_3)
	v_add_f32_e32 v165, v8, v38
	v_mul_f32_e32 v171, 0x3f5ff5aa, v169
	s_delay_alu instid0(VALU_DEP_3) | instskip(SKIP_1) | instid1(VALU_DEP_2)
	v_fmamk_f32 v167, v131, 0x3eae86e6, v162
	v_fma_f32 v162, 0x3f5ff5aa, v169, -v162
	v_fmac_f32_e32 v167, 0x3ee1c552, v165
	s_delay_alu instid0(VALU_DEP_2) | instskip(NEXT) | instid1(VALU_DEP_2)
	v_fmac_f32_e32 v162, 0x3ee1c552, v165
	v_sub_f32_e32 v158, v168, v167
	v_fma_f32 v131, 0xbeae86e6, v131, -v171
	s_delay_alu instid0(VALU_DEP_1) | instskip(SKIP_1) | instid1(VALU_DEP_2)
	v_fmac_f32_e32 v131, 0x3ee1c552, v165
	v_sub_f32_e32 v1, v10, v13
	v_dual_add_f32 v165, v162, v118 :: v_dual_sub_f32 v160, v159, v131
	ds_store_2addr_b32 v112, v3, v5 offset0:14 offset1:21
	ds_store_2addr_b32 v112, v6, v2 offset0:28 offset1:35
	ds_store_b32 v112, v1 offset:168
	global_wb scope:SCOPE_SE
	s_wait_dscnt 0x0
	s_barrier_signal -1
	s_barrier_wait -1
	global_inv scope:SCOPE_SE
	ds_load_b32 v99, v53 offset:9408
	ds_load_2addr_b32 v[6:7], v53 offset1:49
	ds_load_2addr_b32 v[0:1], v137 offset0:38 offset1:87
	ds_load_2addr_b32 v[10:11], v134 offset0:174 offset1:223
	;; [unrolled: 1-line block ×23, first 2 shown]
	global_wb scope:SCOPE_SE
	s_wait_dscnt 0x0
	s_barrier_signal -1
	s_barrier_wait -1
	global_inv scope:SCOPE_SE
	ds_store_2addr_b32 v163, v58, v158 offset1:7
	ds_store_2addr_b32 v163, v160, v165 offset0:14 offset1:21
	v_sub_f32_e32 v58, v118, v162
	v_add_f32_e32 v118, v148, v151
	v_sub_f32_e32 v148, v148, v132
	v_sub_f32_e32 v132, v132, v133
	v_add_f32_e32 v133, v149, v125
	v_sub_f32_e32 v151, v149, v125
	s_delay_alu instid0(VALU_DEP_4) | instskip(NEXT) | instid1(VALU_DEP_1)
	v_dual_sub_f32 v129, v156, v129 :: v_dual_mul_f32 v156, 0x3d64c772, v148
	v_sub_f32_e32 v149, v129, v149
	v_sub_f32_e32 v125, v125, v129
	v_add_f32_e32 v59, v59, v118
	v_add_f32_e32 v129, v133, v129
	v_fmamk_f32 v133, v148, 0x3d64c772, v150
	v_mul_f32_e32 v148, 0xbf08b237, v151
	v_fma_f32 v151, 0x3f3bfb3b, v132, -v156
	v_mul_f32_e32 v156, 0x3f5ff5aa, v125
	v_fmamk_f32 v118, v118, 0xbf955555, v59
	v_fma_f32 v132, 0xbf3bfb3b, v132, -v150
	v_fmamk_f32 v150, v149, 0x3eae86e6, v148
	v_fma_f32 v125, 0x3f5ff5aa, v125, -v148
	v_fma_f32 v148, 0xbeae86e6, v149, -v156
	v_add_f32_e32 v133, v133, v118
	s_delay_alu instid0(VALU_DEP_4) | instskip(NEXT) | instid1(VALU_DEP_4)
	v_dual_add_f32 v149, v151, v118 :: v_dual_fmac_f32 v150, 0x3ee1c552, v129
	v_dual_fmac_f32 v125, 0x3ee1c552, v129 :: v_dual_add_f32 v118, v132, v118
	s_delay_alu instid0(VALU_DEP_4) | instskip(NEXT) | instid1(VALU_DEP_3)
	v_dual_fmac_f32 v148, 0x3ee1c552, v129 :: v_dual_add_f32 v129, v167, v168
	v_dual_sub_f32 v132, v133, v150 :: v_dual_add_f32 v131, v131, v159
	s_delay_alu instid0(VALU_DEP_3) | instskip(SKIP_1) | instid1(VALU_DEP_4)
	v_add_f32_e32 v151, v125, v149
	v_sub_f32_e32 v125, v149, v125
	v_dual_sub_f32 v149, v118, v148 :: v_dual_add_f32 v118, v148, v118
	ds_store_2addr_b32 v163, v58, v131 offset0:28 offset1:35
	ds_store_b32 v163, v129 offset:168
	ds_store_2addr_b32 v161, v59, v132 offset1:7
	ds_store_2addr_b32 v161, v149, v151 offset0:14 offset1:21
	ds_store_2addr_b32 v161, v125, v118 offset0:28 offset1:35
	v_dual_add_f32 v58, v155, v103 :: v_dual_add_f32 v59, v153, v105
	v_sub_f32_e32 v105, v154, v108
	v_add_f32_e32 v108, v130, v122
	v_sub_f32_e32 v122, v127, v128
	s_delay_alu instid0(VALU_DEP_4) | instskip(NEXT) | instid1(VALU_DEP_2)
	v_add_f32_e32 v118, v59, v58
	v_sub_f32_e32 v127, v122, v102
	s_delay_alu instid0(VALU_DEP_1) | instskip(SKIP_4) | instid1(VALU_DEP_4)
	v_mul_f32_e32 v127, 0xbf08b237, v127
	v_dual_sub_f32 v125, v59, v58 :: v_dual_sub_f32 v58, v58, v108
	v_sub_f32_e32 v59, v108, v59
	v_add_f32_e32 v108, v108, v118
	v_add_f32_e32 v118, v122, v102
	v_mul_f32_e32 v58, 0x3f4a47b2, v58
	s_delay_alu instid0(VALU_DEP_3) | instskip(NEXT) | instid1(VALU_DEP_1)
	v_add_f32_e32 v56, v56, v108
	v_fmamk_f32 v108, v108, 0xbf955555, v56
	v_sub_f32_e32 v122, v105, v122
	v_sub_f32_e32 v102, v102, v105
	v_dual_add_f32 v105, v118, v105 :: v_dual_mul_f32 v118, 0x3d64c772, v59
	s_delay_alu instid0(VALU_DEP_2) | instskip(NEXT) | instid1(VALU_DEP_2)
	v_dual_add_f32 v103, v150, v133 :: v_dual_mul_f32 v128, 0x3f5ff5aa, v102
	v_fma_f32 v118, 0x3f3bfb3b, v125, -v118
	ds_store_b32 v161, v103 offset:168
	v_dual_add_f32 v118, v118, v108 :: v_dual_fmamk_f32 v59, v59, 0x3d64c772, v58
	v_fma_f32 v58, 0xbf3bfb3b, v125, -v58
	v_fma_f32 v125, 0xbeae86e6, v122, -v128
	s_delay_alu instid0(VALU_DEP_2) | instskip(SKIP_2) | instid1(VALU_DEP_4)
	v_add_f32_e32 v58, v58, v108
	v_fma_f32 v102, 0x3f5ff5aa, v102, -v127
	v_dual_fmamk_f32 v122, v122, 0x3eae86e6, v127 :: v_dual_add_f32 v59, v59, v108
	v_fmac_f32_e32 v125, 0x3ee1c552, v105
	s_delay_alu instid0(VALU_DEP_1) | instskip(SKIP_2) | instid1(VALU_DEP_1)
	v_sub_f32_e32 v108, v58, v125
	v_add_f32_e32 v58, v125, v58
	v_fmac_f32_e32 v102, 0x3ee1c552, v105
	v_dual_fmac_f32 v122, 0x3ee1c552, v105 :: v_dual_add_f32 v105, v102, v118
	v_sub_f32_e32 v102, v118, v102
	s_delay_alu instid0(VALU_DEP_2)
	v_dual_sub_f32 v118, v59, v122 :: v_dual_add_f32 v59, v122, v59
	v_sub_f32_e32 v122, v110, v86
	v_dual_add_f32 v104, v104, v117 :: v_dual_add_f32 v117, v110, v86
	v_sub_f32_e32 v86, v86, v89
	v_mul_f32_e32 v88, 0x3f4a47b2, v88
	v_sub_f32_e32 v110, v89, v110
	s_delay_alu instid0(VALU_DEP_4)
	v_add_f32_e32 v57, v57, v104
	v_add_f32_e32 v89, v117, v89
	v_mul_f32_e32 v117, 0x3d64c772, v87
	ds_store_2addr_b32 v157, v56, v118 offset1:7
	ds_store_2addr_b32 v157, v108, v105 offset0:14 offset1:21
	ds_store_2addr_b32 v157, v102, v58 offset0:28 offset1:35
	ds_store_b32 v157, v59 offset:168
	v_lshrrev_b16 v56, 8, v67
	v_fmamk_f32 v104, v104, 0xbf955555, v57
	v_fmamk_f32 v87, v87, 0x3d64c772, v88
	v_fma_f32 v88, 0xbf3bfb3b, v111, -v88
	v_fma_f32 v117, 0x3f3bfb3b, v111, -v117
	v_mul_f32_e32 v122, 0xbf08b237, v122
	v_mul_lo_u16 v58, 0x4f, v62
	s_delay_alu instid0(VALU_DEP_4) | instskip(NEXT) | instid1(VALU_DEP_4)
	v_add_f32_e32 v88, v88, v104
	v_add_f32_e32 v117, v117, v104
	v_mul_f32_e32 v125, 0x3f5ff5aa, v86
	v_fma_f32 v86, 0x3f5ff5aa, v86, -v122
	v_lshrrev_b16 v58, 8, v58
	s_delay_alu instid0(VALU_DEP_3) | instskip(SKIP_1) | instid1(VALU_DEP_1)
	v_fma_f32 v111, 0xbeae86e6, v110, -v125
	v_fmamk_f32 v110, v110, 0x3eae86e6, v122
	v_fmac_f32_e32 v110, 0x3ee1c552, v89
	v_fmac_f32_e32 v86, 0x3ee1c552, v89
	s_delay_alu instid0(VALU_DEP_4) | instskip(NEXT) | instid1(VALU_DEP_2)
	v_fmac_f32_e32 v111, 0x3ee1c552, v89
	v_add_f32_e32 v89, v86, v117
	s_delay_alu instid0(VALU_DEP_2) | instskip(SKIP_1) | instid1(VALU_DEP_2)
	v_dual_add_f32 v87, v87, v104 :: v_dual_sub_f32 v104, v88, v111
	v_add_f32_e32 v88, v111, v88
	v_sub_f32_e32 v111, v87, v110
	v_add_f32_e32 v87, v110, v87
	v_sub_f32_e32 v110, v94, v78
	v_sub_f32_e32 v94, v80, v94
	v_dual_sub_f32 v78, v78, v80 :: v_dual_add_f32 v49, v49, v95
	v_add_f32_e32 v80, v96, v80
	v_mul_f32_e32 v96, 0x3d64c772, v79
	v_dual_sub_f32 v86, v117, v86 :: v_dual_fmamk_f32 v79, v79, 0x3d64c772, v81
	s_delay_alu instid0(VALU_DEP_4)
	v_fmamk_f32 v95, v95, 0xbf955555, v49
	v_fma_f32 v81, 0xbf3bfb3b, v97, -v81
	v_mul_f32_e32 v110, 0xbf08b237, v110
	v_fma_f32 v96, 0x3f3bfb3b, v97, -v96
	v_mul_f32_e32 v117, 0x3f5ff5aa, v78
	ds_store_2addr_b32 v101, v57, v111 offset1:7
	ds_store_2addr_b32 v101, v104, v89 offset0:14 offset1:21
	ds_store_2addr_b32 v101, v86, v88 offset0:28 offset1:35
	v_add_f32_e32 v81, v81, v95
	v_fma_f32 v78, 0x3f5ff5aa, v78, -v110
	v_add_f32_e32 v96, v96, v95
	v_fma_f32 v97, 0xbeae86e6, v94, -v117
	v_fmamk_f32 v94, v94, 0x3eae86e6, v110
	v_sub_nc_u16 v57, v66, v56
	s_delay_alu instid0(VALU_DEP_3) | instskip(NEXT) | instid1(VALU_DEP_3)
	v_fmac_f32_e32 v97, 0x3ee1c552, v80
	v_fmac_f32_e32 v94, 0x3ee1c552, v80
	;; [unrolled: 1-line block ×3, first 2 shown]
	s_delay_alu instid0(VALU_DEP_1) | instskip(NEXT) | instid1(VALU_DEP_4)
	v_dual_add_f32 v80, v78, v96 :: v_dual_add_f32 v79, v79, v95
	v_sub_f32_e32 v95, v81, v97
	v_dual_add_f32 v81, v97, v81 :: v_dual_sub_f32 v78, v96, v78
	s_delay_alu instid0(VALU_DEP_3)
	v_dual_sub_f32 v96, v79, v94 :: v_dual_add_f32 v79, v94, v79
	v_dual_sub_f32 v94, v82, v75 :: v_dual_sub_f32 v75, v75, v76
	v_sub_f32_e32 v82, v76, v82
	v_dual_add_f32 v76, v85, v76 :: v_dual_mul_f32 v85, 0x3d64c772, v77
	ds_store_b32 v101, v87 offset:168
	ds_store_2addr_b32 v120, v49, v96 offset1:7
	ds_store_2addr_b32 v120, v95, v80 offset0:14 offset1:21
	v_lshrrev_b16 v49, 1, v57
	v_sub_nc_u16 v57, v51, v58
	v_fma_f32 v85, 0x3f3bfb3b, v84, -v85
	v_mul_f32_e32 v74, 0x3f4a47b2, v74
	s_delay_alu instid0(VALU_DEP_4) | instskip(NEXT) | instid1(VALU_DEP_3)
	v_and_b32_e32 v49, 0x7f, v49
	v_add_f32_e32 v85, v85, v83
	s_delay_alu instid0(VALU_DEP_3)
	v_fmamk_f32 v77, v77, 0x3d64c772, v74
	v_mul_f32_e32 v94, 0xbf08b237, v94
	v_mul_f32_e32 v97, 0x3f5ff5aa, v75
	v_fma_f32 v74, 0xbf3bfb3b, v84, -v74
	v_add_nc_u16 v49, v49, v56
	v_add_f32_e32 v77, v77, v83
	v_fma_f32 v75, 0x3f5ff5aa, v75, -v94
	v_fma_f32 v84, 0xbeae86e6, v82, -v97
	s_delay_alu instid0(VALU_DEP_2) | instskip(SKIP_1) | instid1(VALU_DEP_3)
	v_dual_add_f32 v74, v74, v83 :: v_dual_fmac_f32 v75, 0x3ee1c552, v76
	v_fmamk_f32 v82, v82, 0x3eae86e6, v94
	v_fmac_f32_e32 v84, 0x3ee1c552, v76
	s_delay_alu instid0(VALU_DEP_2) | instskip(NEXT) | instid1(VALU_DEP_2)
	v_fmac_f32_e32 v82, 0x3ee1c552, v76
	v_dual_sub_f32 v83, v74, v84 :: v_dual_add_f32 v74, v84, v74
	v_dual_add_f32 v76, v75, v85 :: v_dual_sub_f32 v75, v85, v75
	s_delay_alu instid0(VALU_DEP_3)
	v_dual_sub_f32 v84, v77, v82 :: v_dual_add_f32 v77, v82, v77
	v_sub_f32_e32 v82, v70, v60
	v_sub_f32_e32 v70, v61, v70
	;; [unrolled: 1-line block ×3, first 2 shown]
	v_dual_add_f32 v61, v73, v61 :: v_dual_add_f32 v18, v18, v71
	v_mul_f32_e32 v73, 0x3d64c772, v68
	ds_store_2addr_b32 v120, v78, v81 offset0:28 offset1:35
	ds_store_b32 v120, v79 offset:168
	ds_store_2addr_b32 v119, v50, v84 offset1:7
	v_lshrrev_b16 v50, 1, v57
	ds_store_2addr_b32 v119, v83, v76 offset0:14 offset1:21
	ds_store_2addr_b32 v119, v75, v74 offset0:28 offset1:35
	v_fmamk_f32 v71, v71, 0xbf955555, v18
	v_fmamk_f32 v68, v68, 0x3d64c772, v69
	v_fma_f32 v69, 0xbf3bfb3b, v72, -v69
	v_fma_f32 v73, 0x3f3bfb3b, v72, -v73
	v_mul_f32_e32 v82, 0xbf08b237, v82
	v_and_b32_e32 v50, 0x7f, v50
	v_mul_lo_u16 v57, 0x4f, v63
	v_add_f32_e32 v69, v69, v71
	v_dual_mul_f32 v85, 0x3f5ff5aa, v60 :: v_dual_add_f32 v68, v68, v71
	v_add_f32_e32 v73, v73, v71
	v_fma_f32 v60, 0x3f5ff5aa, v60, -v82
	v_lshrrev_b16 v56, 8, v57
	s_delay_alu instid0(VALU_DEP_4) | instskip(SKIP_1) | instid1(VALU_DEP_2)
	v_fma_f32 v72, 0xbeae86e6, v70, -v85
	v_mul_u32_u24_e32 v57, 0x4e5f, v64
	v_fmac_f32_e32 v72, 0x3ee1c552, v61
	v_fmac_f32_e32 v60, 0x3ee1c552, v61
	s_delay_alu instid0(VALU_DEP_3) | instskip(NEXT) | instid1(VALU_DEP_3)
	v_lshrrev_b32_e32 v57, 16, v57
	v_dual_sub_f32 v71, v69, v72 :: v_dual_fmamk_f32 v70, v70, 0x3eae86e6, v82
	s_delay_alu instid0(VALU_DEP_1) | instskip(SKIP_2) | instid1(VALU_DEP_3)
	v_fmac_f32_e32 v70, 0x3ee1c552, v61
	v_add_f32_e32 v69, v72, v69
	v_dual_add_f32 v61, v60, v73 :: v_dual_sub_f32 v60, v73, v60
	v_sub_f32_e32 v72, v68, v70
	ds_store_b32 v119, v77 offset:168
	ds_store_2addr_b32 v112, v18, v72 offset1:7
	v_lshrrev_b16 v18, 5, v49
	v_add_nc_u16 v49, v50, v58
	ds_store_2addr_b32 v112, v71, v61 offset0:14 offset1:21
	ds_store_2addr_b32 v112, v60, v69 offset0:28 offset1:35
	v_sub_nc_u16 v50, v140, v56
	v_mul_lo_u16 v18, v18, 49
	v_lshrrev_b16 v49, 5, v49
	s_delay_alu instid0(VALU_DEP_3) | instskip(NEXT) | instid1(VALU_DEP_3)
	v_lshrrev_b16 v50, 1, v50
	v_sub_nc_u16 v18, v66, v18
	s_delay_alu instid0(VALU_DEP_3) | instskip(NEXT) | instid1(VALU_DEP_3)
	v_mul_lo_u16 v49, v49, 49
	v_and_b32_e32 v50, 0x7f, v50
	s_delay_alu instid0(VALU_DEP_3) | instskip(NEXT) | instid1(VALU_DEP_3)
	v_and_b32_e32 v60, 0xff, v18
	v_sub_nc_u16 v18, v51, v49
	v_mul_u32_u24_e32 v49, 0x4e5f, v65
	v_sub_nc_u16 v51, v141, v57
	v_add_nc_u16 v50, v50, v56
	v_mul_u32_u24_e32 v56, 6, v60
	v_and_b32_e32 v59, 0xff, v18
	v_lshrrev_b32_e32 v49, 16, v49
	v_lshrrev_b16 v51, 1, v51
	v_lshrrev_b16 v50, 5, v50
	v_lshlrev_b32_e32 v77, 3, v56
	v_mul_u32_u24_e32 v56, 6, v59
	v_sub_nc_u16 v18, v142, v49
	v_add_nc_u16 v51, v51, v57
	v_mul_lo_u16 v50, v50, 49
	s_delay_alu instid0(VALU_DEP_4) | instskip(NEXT) | instid1(VALU_DEP_4)
	v_lshlrev_b32_e32 v78, 3, v56
	v_lshrrev_b16 v18, 1, v18
	s_delay_alu instid0(VALU_DEP_4) | instskip(NEXT) | instid1(VALU_DEP_4)
	v_lshrrev_b16 v51, 5, v51
	v_sub_nc_u16 v50, v140, v50
	s_delay_alu instid0(VALU_DEP_3) | instskip(NEXT) | instid1(VALU_DEP_3)
	v_add_nc_u16 v18, v18, v49
	v_mul_lo_u16 v49, v51, 49
	v_mul_u32_u24_e32 v51, 6, v52
	s_delay_alu instid0(VALU_DEP_3) | instskip(NEXT) | instid1(VALU_DEP_3)
	v_lshrrev_b16 v18, 5, v18
	v_sub_nc_u16 v49, v141, v49
	s_delay_alu instid0(VALU_DEP_2) | instskip(NEXT) | instid1(VALU_DEP_2)
	v_mul_lo_u16 v18, v18, 49
	v_and_b32_e32 v57, 0xffff, v49
	s_delay_alu instid0(VALU_DEP_2) | instskip(NEXT) | instid1(VALU_DEP_2)
	v_sub_nc_u16 v18, v142, v18
	v_mul_u32_u24_e32 v49, 6, v57
	s_delay_alu instid0(VALU_DEP_2) | instskip(NEXT) | instid1(VALU_DEP_2)
	v_and_b32_e32 v56, 0xffff, v18
	v_lshlrev_b32_e32 v18, 3, v49
	s_delay_alu instid0(VALU_DEP_2) | instskip(NEXT) | instid1(VALU_DEP_1)
	v_mul_u32_u24_e32 v49, 6, v56
	v_lshlrev_b32_e32 v79, 3, v49
	v_dual_add_f32 v68, v70, v68 :: v_dual_lshlrev_b32 v49, 3, v51
	ds_store_b32 v112, v68 offset:168
	global_wb scope:SCOPE_SE
	s_wait_dscnt 0x0
	s_barrier_signal -1
	s_barrier_wait -1
	global_inv scope:SCOPE_SE
	s_clause 0x2
	global_load_b128 v[61:64], v77, s[4:5] offset:368
	global_load_b128 v[65:68], v78, s[4:5] offset:368
	;; [unrolled: 1-line block ×3, first 2 shown]
	s_wait_loadcnt 0x2
	v_dual_mul_f32 v117, v47, v64 :: v_dual_and_b32 v58, 0xff, v50
	v_mul_f32_e32 v113, v40, v62
	s_delay_alu instid0(VALU_DEP_2) | instskip(NEXT) | instid1(VALU_DEP_1)
	v_mul_u32_u24_e32 v50, 6, v58
	v_lshlrev_b32_e32 v50, 3, v50
	s_clause 0xe
	global_load_b128 v[69:72], v50, s[4:5] offset:368
	global_load_b128 v[80:83], v79, s[4:5] offset:368
	;; [unrolled: 1-line block ×15, first 2 shown]
	ds_load_2addr_b32 v[77:78], v138 offset0:100 offset1:149
	ds_load_2addr_b32 v[50:51], v136 offset0:108 offset1:157
	;; [unrolled: 1-line block ×4, first 2 shown]
	s_wait_loadcnt 0x10
	v_mul_f32_e32 v110, v48, v68
	s_wait_dscnt 0x3
	v_mul_f32_e32 v18, v78, v62
	s_wait_dscnt 0x2
	v_mul_f32_e32 v79, v50, v64
	v_fmac_f32_e32 v113, v78, v61
	v_fmac_f32_e32 v117, v50, v63
	v_fma_f32 v112, v40, v61, -v18
	v_mul_f32_e32 v18, v51, v68
	ds_load_2addr_b32 v[61:62], v115 offset0:168 offset1:217
	ds_load_b32 v68, v53 offset:9408
	v_fma_f32 v118, v47, v63, -v79
	s_wait_dscnt 0x3
	v_mul_f32_e32 v40, v96, v66
	ds_load_2addr_b32 v[63:64], v136 offset0:10 offset1:59
	v_fma_f32 v109, v48, v67, -v18
	v_fmac_f32_e32 v110, v51, v67
	v_mul_f32_e32 v108, v45, v66
	v_fma_f32 v79, v45, v65, -v40
	s_wait_loadcnt 0xf
	v_mul_f32_e32 v45, v42, v76
	s_wait_dscnt 0x3
	s_delay_alu instid0(VALU_DEP_1)
	v_fmac_f32_e32 v45, v105, v75
	s_wait_loadcnt 0xc
	v_dual_mul_f32 v131, v36, v87 :: v_dual_mul_f32 v130, v39, v85
	s_wait_loadcnt 0x9
	v_mul_f32_e32 v111, v30, v101
	s_wait_loadcnt 0x8
	v_mul_f32_e32 v119, v29, v122
	s_wait_dscnt 0x0
	v_fmac_f32_e32 v131, v64, v86
	v_mul_f32_e32 v120, v28, v124
	s_wait_loadcnt 0x3
	v_mul_f32_e32 v125, v17, v160
	s_wait_loadcnt 0x2
	v_mul_f32_e32 v133, v15, v166
	v_mul_f32_e32 v18, v97, v70
	;; [unrolled: 1-line block ×5, first 2 shown]
	s_delay_alu instid0(VALU_DEP_4) | instskip(NEXT) | instid1(VALU_DEP_4)
	v_fma_f32 v50, v46, v69, -v18
	v_fma_f32 v51, v41, v71, -v40
	v_mul_f32_e32 v18, v105, v76
	v_mul_f32_e32 v46, v43, v74
	;; [unrolled: 1-line block ×3, first 2 shown]
	s_delay_alu instid0(VALU_DEP_3) | instskip(NEXT) | instid1(VALU_DEP_3)
	v_fma_f32 v47, v42, v75, -v18
	v_fmac_f32_e32 v46, v61, v73
	v_mul_f32_e32 v42, v68, v83
	s_delay_alu instid0(VALU_DEP_4)
	v_fmac_f32_e32 v41, v68, v82
	ds_load_2addr_b32 v[67:68], v107 offset0:122 offset1:171
	v_mul_f32_e32 v40, v61, v74
	v_mul_f32_e32 v61, v77, v85
	;; [unrolled: 1-line block ×3, first 2 shown]
	ds_load_2addr_b32 v[75:76], v126 offset0:114 offset1:163
	v_fma_f32 v42, v99, v82, -v42
	v_fma_f32 v43, v43, v73, -v40
	v_mul_f32_e32 v40, v44, v81
	v_fma_f32 v127, v39, v84, -v61
	v_dual_mul_f32 v39, v63, v87 :: v_dual_fmac_f32 v108, v96, v65
	ds_load_2addr_b32 v[65:66], v116 offset0:130 offset1:179
	v_fmac_f32_e32 v40, v62, v80
	v_mul_f32_e32 v62, v35, v87
	v_fma_f32 v61, v35, v86, -v39
	v_mul_f32_e32 v35, v33, v91
	v_fma_f32 v18, v44, v80, -v18
	v_mul_f32_e32 v44, v64, v87
	v_dual_fmac_f32 v62, v63, v86 :: v_dual_mul_f32 v63, v34, v85
	v_fmac_f32_e32 v48, v97, v69
	ds_load_2addr_b32 v[69:70], v116 offset0:32 offset1:81
	v_fmac_f32_e32 v78, v104, v71
	v_fma_f32 v129, v36, v86, -v44
	ds_load_2addr_b32 v[71:72], v139 offset0:152 offset1:201
	s_wait_dscnt 0x4
	v_mul_f32_e32 v44, v67, v93
	s_wait_dscnt 0x2
	v_dual_mul_f32 v36, v66, v85 :: v_dual_mul_f32 v39, v65, v91
	v_fmac_f32_e32 v63, v66, v84
	v_fmac_f32_e32 v35, v65, v90
	ds_load_2addr_b32 v[65:66], v135 offset0:190 offset1:239
	v_fma_f32 v64, v34, v84, -v36
	v_mul_f32_e32 v36, v68, v89
	v_mul_f32_e32 v34, v38, v89
	v_fma_f32 v33, v33, v90, -v39
	v_mul_f32_e32 v39, v37, v93
	s_wait_dscnt 0x2
	v_mul_f32_e32 v73, v70, v95
	v_fma_f32 v36, v38, v88, -v36
	v_fma_f32 v37, v37, v92, -v44
	v_mul_f32_e32 v44, v31, v103
	s_wait_dscnt 0x1
	v_mul_f32_e32 v74, v72, v101
	v_fma_f32 v38, v32, v94, -v73
	v_mul_f32_e32 v73, v69, v103
	v_dual_fmac_f32 v111, v72, v100 :: v_dual_mul_f32 v72, v71, v122
	s_delay_alu instid0(VALU_DEP_4) | instskip(SKIP_1) | instid1(VALU_DEP_4)
	v_fma_f32 v30, v30, v100, -v74
	v_fmac_f32_e32 v119, v71, v121
	v_fma_f32 v31, v31, v102, -v73
	v_fmac_f32_e32 v39, v67, v92
	v_fma_f32 v29, v29, v121, -v72
	s_wait_dscnt 0x0
	v_mul_f32_e32 v73, v66, v124
	v_dual_fmac_f32 v120, v66, v123 :: v_dual_mul_f32 v121, v19, v162
	v_mul_f32_e32 v74, v65, v146
	v_fmac_f32_e32 v130, v77, v84
	s_delay_alu instid0(VALU_DEP_4)
	v_fma_f32 v28, v28, v123, -v73
	v_mul_f32_e32 v123, v27, v146
	v_fmac_f32_e32 v121, v75, v161
	v_fma_f32 v122, v27, v145, -v74
	ds_load_2addr_b32 v[71:72], v106 offset0:84 offset1:133
	v_fmac_f32_e32 v44, v69, v102
	v_fmac_f32_e32 v123, v65, v145
	v_mul_f32_e32 v145, v24, v150
	v_dual_mul_f32 v32, v32, v95 :: v_dual_mul_f32 v65, v23, v150
	ds_load_2addr_b32 v[73:74], v134 offset0:76 offset1:125
	v_dual_mul_f32 v124, v26, v144 :: v_dual_mul_f32 v77, v76, v158
	v_fmac_f32_e32 v32, v70, v94
	ds_load_2addr_b32 v[69:70], v135 offset0:92 offset1:141
	v_fmac_f32_e32 v34, v68, v88
	ds_load_2addr_b32 v[67:68], v139 offset0:54 offset1:103
	s_wait_dscnt 0x1
	v_fmac_f32_e32 v65, v69, v149
	v_fmac_f32_e32 v145, v70, v149
	s_wait_dscnt 0x0
	v_mul_f32_e32 v27, v68, v144
	v_mul_f32_e32 v66, v67, v148
	v_fmac_f32_e32 v124, v68, v143
	v_mul_f32_e32 v144, v25, v148
	s_delay_alu instid0(VALU_DEP_4) | instskip(NEXT) | instid1(VALU_DEP_4)
	v_fma_f32 v128, v26, v143, -v27
	v_fma_f32 v143, v25, v147, -v66
	v_mul_f32_e32 v25, v69, v150
	v_mul_f32_e32 v26, v70, v150
	v_dual_fmac_f32 v144, v67, v147 :: v_dual_mul_f32 v67, v22, v148
	ds_load_2addr_b32 v[69:70], v114 offset0:106 offset1:155
	v_fma_f32 v66, v23, v149, -v25
	v_mul_f32_e32 v23, v21, v154
	v_fma_f32 v146, v24, v149, -v26
	v_mul_f32_e32 v24, v72, v148
	v_dual_mul_f32 v26, v74, v152 :: v_dual_mul_f32 v25, v71, v154
	v_fmac_f32_e32 v67, v72, v147
	v_fmac_f32_e32 v23, v71, v153
	ds_load_2addr_b32 v[71:72], v126 offset0:16 offset1:65
	v_fma_f32 v68, v22, v147, -v24
	v_fma_f32 v22, v9, v151, -v26
	v_mul_f32_e32 v24, v9, v152
	v_dual_mul_f32 v9, v73, v156 :: v_dual_mul_f32 v26, v20, v158
	v_fma_f32 v21, v21, v153, -v25
	v_mul_f32_e32 v25, v8, v156
	v_fma_f32 v20, v20, v157, -v77
	s_delay_alu instid0(VALU_DEP_4)
	v_fma_f32 v27, v8, v155, -v9
	v_fmac_f32_e32 v26, v76, v157
	ds_load_2addr_b32 v[76:77], v137 offset0:136 offset1:185
	ds_load_2addr_b32 v[8:9], v137 offset0:38 offset1:87
	;; [unrolled: 1-line block ×3, first 2 shown]
	v_fmac_f32_e32 v25, v73, v155
	v_mul_f32_e32 v73, v75, v162
	s_wait_loadcnt 0x1
	v_mul_f32_e32 v148, v14, v170
	s_wait_dscnt 0x4
	v_dual_fmac_f32 v125, v70, v159 :: v_dual_mul_f32 v150, v13, v168
	v_add_f32_e32 v87, v143, v146
	v_fma_f32 v19, v19, v161, -v73
	v_sub_f32_e32 v143, v146, v143
	s_wait_dscnt 0x3
	v_mul_f32_e32 v73, v71, v170
	v_fmac_f32_e32 v133, v72, v165
	s_delay_alu instid0(VALU_DEP_2) | instskip(SKIP_2) | instid1(VALU_DEP_1)
	v_fma_f32 v147, v14, v169, -v73
	s_wait_dscnt 0x2
	v_mul_f32_e32 v14, v77, v168
	v_fma_f32 v149, v13, v167, -v14
	v_sub_f32_e32 v14, v65, v67
	s_wait_loadcnt 0x0
	v_dual_fmac_f32 v148, v71, v169 :: v_dual_mul_f32 v71, v76, v172
	s_delay_alu instid0(VALU_DEP_1)
	v_fma_f32 v152, v12, v171, -v71
	v_mul_f32_e32 v71, v10, v174
	v_fmac_f32_e32 v24, v74, v151
	v_mul_f32_e32 v74, v70, v160
	v_mul_f32_e32 v70, v72, v166
	;; [unrolled: 1-line block ×3, first 2 shown]
	s_wait_dscnt 0x0
	v_fmac_f32_e32 v71, v85, v173
	v_fma_f32 v17, v17, v159, -v74
	v_fma_f32 v15, v15, v165, -v70
	v_mul_f32_e32 v70, v85, v174
	v_fmac_f32_e32 v72, v9, v171
	v_add_f32_e32 v101, v71, v63
	s_delay_alu instid0(VALU_DEP_3) | instskip(NEXT) | instid1(VALU_DEP_1)
	v_fma_f32 v70, v10, v173, -v70
	v_dual_add_f32 v10, v68, v66 :: v_dual_add_f32 v75, v70, v64
	s_delay_alu instid0(VALU_DEP_1) | instskip(NEXT) | instid1(VALU_DEP_1)
	v_dual_mul_f32 v80, v69, v164 :: v_dual_sub_f32 v81, v10, v75
	v_fma_f32 v132, v16, v163, -v80
	v_mul_f32_e32 v16, v16, v164
	s_delay_alu instid0(VALU_DEP_1) | instskip(SKIP_2) | instid1(VALU_DEP_2)
	v_fmac_f32_e32 v16, v69, v163
	v_mul_f32_e32 v69, v9, v172
	v_mul_f32_e32 v9, v86, v174
	v_fma_f32 v69, v1, v171, -v69
	v_dual_mul_f32 v1, v12, v172 :: v_dual_sub_f32 v12, v71, v63
	s_delay_alu instid0(VALU_DEP_3) | instskip(NEXT) | instid1(VALU_DEP_3)
	v_fma_f32 v153, v11, v173, -v9
	v_add_f32_e32 v73, v69, v61
	s_delay_alu instid0(VALU_DEP_3) | instskip(NEXT) | instid1(VALU_DEP_4)
	v_fmac_f32_e32 v1, v76, v171
	v_dual_add_f32 v85, v14, v12 :: v_dual_sub_f32 v98, v69, v61
	s_delay_alu instid0(VALU_DEP_3) | instskip(SKIP_2) | instid1(VALU_DEP_3)
	v_dual_add_f32 v13, v75, v73 :: v_dual_sub_f32 v82, v73, v10
	v_sub_f32_e32 v73, v75, v73
	v_mul_f32_e32 v75, 0x3d64c772, v81
	v_add_f32_e32 v74, v10, v13
	v_dual_sub_f32 v10, v14, v12 :: v_dual_sub_f32 v13, v72, v62
	v_mul_f32_e32 v84, 0x3f4a47b2, v82
	s_delay_alu instid0(VALU_DEP_4) | instskip(NEXT) | instid1(VALU_DEP_3)
	v_fma_f32 v75, 0x3f3bfb3b, v73, -v75
	v_dual_mul_f32 v83, 0xbf08b237, v10 :: v_dual_fmac_f32 v150, v77, v167
	s_delay_alu instid0(VALU_DEP_4) | instskip(NEXT) | instid1(VALU_DEP_4)
	v_dual_add_f32 v77, v6, v74 :: v_dual_add_f32 v82, v85, v13
	v_fma_f32 v73, 0xbf3bfb3b, v73, -v84
	s_delay_alu instid0(VALU_DEP_2) | instskip(NEXT) | instid1(VALU_DEP_1)
	v_fmamk_f32 v85, v74, 0xbf955555, v77
	v_dual_add_f32 v73, v73, v85 :: v_dual_mul_f32 v6, v11, v174
	v_dual_add_f32 v75, v75, v85 :: v_dual_sub_f32 v80, v13, v14
	s_delay_alu instid0(VALU_DEP_2) | instskip(SKIP_2) | instid1(VALU_DEP_4)
	v_fmac_f32_e32 v6, v86, v173
	v_sub_f32_e32 v86, v12, v13
	v_fmamk_f32 v10, v81, 0x3d64c772, v84
	v_fmamk_f32 v74, v80, 0x3eae86e6, v83
	v_add_f32_e32 v84, v153, v127
	ds_load_2addr_b32 v[13:14], v53 offset0:98 offset1:147
	v_mul_f32_e32 v81, 0x3f5ff5aa, v86
	ds_load_2addr_b32 v[11:12], v53 offset0:196 offset1:245
	v_dual_add_f32 v100, v72, v62 :: v_dual_sub_f32 v127, v153, v127
	v_fma_f32 v80, 0xbeae86e6, v80, -v81
	v_fma_f32 v81, 0x3f5ff5aa, v86, -v83
	s_delay_alu instid0(VALU_DEP_3) | instskip(NEXT) | instid1(VALU_DEP_1)
	v_dual_add_f32 v83, v152, v129 :: v_dual_sub_f32 v146, v143, v127
	v_dual_fmac_f32 v81, 0x3ee1c552, v82 :: v_dual_add_f32 v88, v84, v83
	s_delay_alu instid0(VALU_DEP_2) | instskip(NEXT) | instid1(VALU_DEP_2)
	v_mul_f32_e32 v146, 0xbf08b237, v146
	v_dual_sub_f32 v86, v75, v81 :: v_dual_add_f32 v75, v81, v75
	v_sub_f32_e32 v81, v6, v130
	v_fmac_f32_e32 v80, 0x3ee1c552, v82
	v_add_f32_e32 v76, v10, v85
	ds_load_2addr_b32 v[9:10], v53 offset1:49
	global_wb scope:SCOPE_SE
	s_wait_dscnt 0x0
	s_barrier_signal -1
	v_add_f32_e32 v85, v80, v73
	v_dual_sub_f32 v73, v73, v80 :: v_dual_sub_f32 v80, v84, v83
	v_dual_sub_f32 v83, v83, v87 :: v_dual_fmac_f32 v74, 0x3ee1c552, v82
	s_barrier_wait -1
	global_inv scope:SCOPE_SE
	v_dual_mul_f32 v83, 0x3f4a47b2, v83 :: v_dual_add_f32 v82, v74, v76
	ds_store_2addr_b32 v53, v77, v82 offset1:49
	ds_store_2addr_b32 v53, v85, v86 offset0:98 offset1:147
	v_add_f32_e32 v77, v87, v88
	v_sub_f32_e32 v82, v145, v144
	v_sub_f32_e32 v85, v1, v131
	ds_store_2addr_b32 v53, v75, v73 offset0:196 offset1:245
	v_dual_add_f32 v6, v6, v130 :: v_dual_add_f32 v7, v7, v77
	v_dual_sub_f32 v86, v82, v81 :: v_dual_add_f32 v1, v1, v131
	s_delay_alu instid0(VALU_DEP_2) | instskip(SKIP_4) | instid1(VALU_DEP_4)
	v_dual_fmamk_f32 v77, v77, 0xbf955555, v7 :: v_dual_sub_f32 v84, v87, v84
	v_add_f32_e32 v87, v82, v81
	v_sub_f32_e32 v81, v81, v85
	v_sub_f32_e32 v82, v85, v82
	v_add_f32_e32 v130, v6, v1
	v_add_f32_e32 v85, v87, v85
	s_delay_alu instid0(VALU_DEP_4) | instskip(NEXT) | instid1(VALU_DEP_1)
	v_dual_mul_f32 v87, 0x3f5ff5aa, v81 :: v_dual_sub_f32 v74, v76, v74
	v_fma_f32 v75, 0xbeae86e6, v82, -v87
	ds_store_2addr_b32 v137, v74, v7 offset0:38 offset1:87
	v_add_f32_e32 v7, v128, v122
	v_fmac_f32_e32 v75, 0x3ee1c552, v85
	v_mul_f32_e32 v86, 0xbf08b237, v86
	s_delay_alu instid0(VALU_DEP_1) | instskip(SKIP_1) | instid1(VALU_DEP_2)
	v_fmamk_f32 v89, v82, 0x3eae86e6, v86
	v_fma_f32 v73, 0xbf3bfb3b, v80, -v83
	v_fmac_f32_e32 v89, 0x3ee1c552, v85
	s_delay_alu instid0(VALU_DEP_2) | instskip(SKIP_1) | instid1(VALU_DEP_1)
	v_dual_add_f32 v73, v73, v77 :: v_dual_fmamk_f32 v88, v84, 0x3d64c772, v83
	v_dual_mul_f32 v83, 0x3d64c772, v84 :: v_dual_add_f32 v84, v149, v118
	v_fma_f32 v80, 0x3f3bfb3b, v80, -v83
	s_delay_alu instid0(VALU_DEP_3) | instskip(SKIP_2) | instid1(VALU_DEP_2)
	v_add_f32_e32 v83, v75, v73
	v_fma_f32 v81, 0x3f5ff5aa, v81, -v86
	v_sub_f32_e32 v73, v73, v75
	v_fmac_f32_e32 v81, 0x3ee1c552, v85
	v_dual_sub_f32 v85, v150, v117 :: v_dual_add_f32 v86, v147, v112
	v_sub_f32_e32 v87, v84, v7
	v_add_f32_e32 v82, v88, v77
	v_add_f32_e32 v77, v80, v77
	v_sub_f32_e32 v80, v148, v113
	s_delay_alu instid0(VALU_DEP_4) | instskip(SKIP_1) | instid1(VALU_DEP_2)
	v_dual_add_f32 v74, v86, v84 :: v_dual_mul_f32 v87, 0x3f4a47b2, v87
	v_sub_f32_e32 v112, v147, v112
	v_add_f32_e32 v74, v7, v74
	v_sub_f32_e32 v7, v7, v86
	v_dual_add_f32 v76, v89, v82 :: v_dual_sub_f32 v75, v82, v89
	v_add_f32_e32 v82, v132, v109
	s_delay_alu instid0(VALU_DEP_4)
	v_dual_add_f32 v91, v4, v74 :: v_dual_add_f32 v4, v81, v77
	ds_store_2addr_b32 v137, v76, v83 offset0:136 offset1:185
	v_dual_sub_f32 v83, v123, v124 :: v_dual_sub_f32 v76, v77, v81
	ds_store_2addr_b32 v134, v73, v75 offset0:76 offset1:125
	v_fmamk_f32 v81, v7, 0x3d64c772, v87
	v_dual_sub_f32 v109, v132, v109 :: v_dual_sub_f32 v88, v83, v80
	v_add_f32_e32 v90, v83, v80
	v_dual_sub_f32 v80, v80, v85 :: v_dual_sub_f32 v83, v85, v83
	ds_store_2addr_b32 v114, v76, v4 offset0:106 offset1:155
	v_lshl_add_u32 v4, v60, 2, 0
	v_add_f32_e32 v77, v90, v85
	v_mul_f32_e32 v75, 0x3f5ff5aa, v80
	v_fmamk_f32 v74, v74, 0xbf955555, v91
	s_delay_alu instid0(VALU_DEP_4) | instskip(NEXT) | instid1(VALU_DEP_3)
	v_add_nc_u32_e32 v154, 0xc00, v4
	v_fma_f32 v75, 0xbeae86e6, v83, -v75
	v_sub_f32_e32 v60, v86, v84
	v_add_f32_e32 v84, v15, v79
	v_dual_mul_f32 v88, 0xbf08b237, v88 :: v_dual_sub_f32 v15, v15, v79
	s_delay_alu instid0(VALU_DEP_4) | instskip(NEXT) | instid1(VALU_DEP_2)
	v_fmac_f32_e32 v75, 0x3ee1c552, v77
	v_dual_add_f32 v85, v84, v82 :: v_dual_fmamk_f32 v90, v83, 0x3eae86e6, v88
	v_add_f32_e32 v83, v29, v28
	v_dual_add_f32 v76, v81, v74 :: v_dual_mul_f32 v81, 0x3d64c772, v7
	v_fma_f32 v80, 0x3f5ff5aa, v80, -v88
	v_sub_f32_e32 v28, v28, v29
	s_delay_alu instid0(VALU_DEP_3) | instskip(SKIP_3) | instid1(VALU_DEP_3)
	v_fma_f32 v81, 0x3f3bfb3b, v60, -v81
	v_fma_f32 v60, 0xbf3bfb3b, v60, -v87
	v_add_nc_u32_e32 v7, 0x800, v4
	v_fmac_f32_e32 v80, 0x3ee1c552, v77
	v_add_f32_e32 v60, v60, v74
	s_delay_alu instid0(VALU_DEP_1) | instskip(NEXT) | instid1(VALU_DEP_1)
	v_dual_fmac_f32 v90, 0x3ee1c552, v77 :: v_dual_add_f32 v77, v75, v60
	v_dual_add_f32 v73, v90, v76 :: v_dual_sub_f32 v60, v60, v75
	ds_store_2addr_b32 v7, v91, v73 offset0:174 offset1:223
	v_dual_add_f32 v73, v81, v74 :: v_dual_add_f32 v74, v83, v85
	v_sub_f32_e32 v81, v133, v108
	v_sub_f32_e32 v85, v120, v119
	v_sub_f32_e32 v88, v16, v110
	v_add_f32_e32 v16, v16, v110
	v_add_f32_e32 v87, v5, v74
	v_sub_f32_e32 v5, v82, v83
	v_sub_f32_e32 v89, v85, v81
	v_sub_f32_e32 v86, v73, v80
	v_add_f32_e32 v91, v85, v81
	v_sub_f32_e32 v85, v88, v85
	v_mul_f32_e32 v92, 0x3f4a47b2, v5
	v_mul_f32_e32 v89, 0xbf08b237, v89
	v_dual_sub_f32 v83, v83, v84 :: v_dual_fmamk_f32 v74, v74, 0xbf955555, v87
	v_add_f32_e32 v91, v91, v88
	v_add_f32_e32 v73, v80, v73
	s_delay_alu instid0(VALU_DEP_4) | instskip(NEXT) | instid1(VALU_DEP_4)
	v_fmamk_f32 v93, v85, 0x3eae86e6, v89
	v_mul_f32_e32 v80, 0x3d64c772, v83
	ds_store_2addr_b32 v154, v77, v86 offset0:16 offset1:65
	v_sub_f32_e32 v77, v81, v88
	v_add_f32_e32 v81, v17, v51
	v_fmac_f32_e32 v93, 0x3ee1c552, v91
	v_fmamk_f32 v5, v83, 0x3d64c772, v92
	v_dual_add_f32 v83, v30, v31 :: v_dual_sub_f32 v86, v125, v78
	v_add_f32_e32 v108, v133, v108
	s_delay_alu instid0(VALU_DEP_3) | instskip(SKIP_2) | instid1(VALU_DEP_4)
	v_dual_add_f32 v110, v119, v120 :: v_dual_add_f32 v75, v5, v74
	v_lshl_add_u32 v5, v59, 2, 0
	v_sub_f32_e32 v59, v84, v82
	v_dual_add_f32 v82, v19, v50 :: v_dual_add_f32 v79, v108, v16
	s_delay_alu instid0(VALU_DEP_3) | instskip(SKIP_1) | instid1(VALU_DEP_3)
	v_dual_add_f32 v78, v125, v78 :: v_dual_add_nc_u32 v155, 0x1000, v5
	v_dual_sub_f32 v29, v108, v16 :: v_dual_sub_f32 v30, v31, v30
	v_add_f32_e32 v84, v82, v81
	s_delay_alu instid0(VALU_DEP_4) | instskip(SKIP_2) | instid1(VALU_DEP_4)
	v_dual_add_f32 v79, v110, v79 :: v_dual_sub_f32 v16, v16, v110
	v_sub_f32_e32 v108, v110, v108
	v_add_f32_e32 v110, v28, v15
	v_add_f32_e32 v84, v83, v84
	v_fma_f32 v80, 0x3f3bfb3b, v59, -v80
	v_fma_f32 v59, 0xbf3bfb3b, v59, -v92
	v_dual_mul_f32 v16, 0x3f4a47b2, v16 :: v_dual_sub_f32 v19, v19, v50
	s_delay_alu instid0(VALU_DEP_4) | instskip(NEXT) | instid1(VALU_DEP_4)
	v_add_f32_e32 v94, v2, v84
	v_add_f32_e32 v80, v80, v74
	s_delay_alu instid0(VALU_DEP_4)
	v_dual_add_f32 v59, v59, v74 :: v_dual_sub_f32 v74, v121, v48
	ds_store_2addr_b32 v154, v73, v60 offset0:114 offset1:163
	v_sub_f32_e32 v88, v81, v83
	v_fmamk_f32 v84, v84, 0xbf955555, v94
	v_mul_f32_e32 v73, 0x3f5ff5aa, v77
	v_fma_f32 v77, 0x3f5ff5aa, v77, -v89
	v_add_f32_e32 v60, v93, v75
	v_mul_f32_e32 v88, 0x3f4a47b2, v88
	v_add_f32_e32 v48, v121, v48
	v_fma_f32 v73, 0xbeae86e6, v85, -v73
	v_sub_f32_e32 v85, v44, v111
	v_fmac_f32_e32 v77, 0x3ee1c552, v91
	ds_store_2addr_b32 v155, v87, v60 offset0:5 offset1:54
	v_add_f32_e32 v14, v14, v79
	v_dual_fmac_f32 v73, 0x3ee1c552, v91 :: v_dual_add_f32 v92, v85, v74
	v_sub_f32_e32 v83, v83, v82
	v_add_f32_e32 v44, v111, v44
	s_delay_alu instid0(VALU_DEP_4) | instskip(NEXT) | instid1(VALU_DEP_3)
	v_dual_fmamk_f32 v79, v79, 0xbf955555, v14 :: v_dual_add_f32 v50, v48, v78
	v_dual_add_f32 v91, v92, v86 :: v_dual_fmamk_f32 v2, v83, 0x3d64c772, v88
	v_sub_f32_e32 v89, v85, v74
	v_sub_f32_e32 v17, v17, v51
	;; [unrolled: 1-line block ×4, first 2 shown]
	v_add_f32_e32 v95, v2, v84
	v_lshl_add_u32 v2, v58, 2, 0
	v_dual_add_f32 v58, v77, v80 :: v_dual_sub_f32 v85, v86, v85
	v_dual_add_f32 v60, v73, v59 :: v_dual_sub_f32 v59, v59, v73
	v_dual_sub_f32 v73, v74, v86 :: v_dual_add_f32 v74, v27, v47
	v_mul_f32_e32 v89, 0xbf08b237, v89
	v_add_nc_u32_e32 v156, 0x1400, v2
	ds_store_2addr_b32 v155, v58, v59 offset0:201 offset1:250
	v_sub_f32_e32 v58, v82, v81
	v_dual_sub_f32 v87, v80, v77 :: v_dual_fmamk_f32 v92, v85, 0x3eae86e6, v89
	v_mul_f32_e32 v59, 0x3d64c772, v83
	v_dual_add_f32 v77, v20, v43 :: v_dual_sub_f32 v82, v26, v46
	ds_store_2addr_b32 v155, v60, v87 offset0:103 offset1:152
	v_fmac_f32_e32 v92, 0x3ee1c552, v91
	v_fma_f32 v59, 0x3f3bfb3b, v58, -v59
	v_fma_f32 v58, 0xbf3bfb3b, v58, -v88
	v_add_f32_e32 v80, v37, v38
	s_delay_alu instid0(VALU_DEP_4) | instskip(SKIP_1) | instid1(VALU_DEP_4)
	v_dual_add_f32 v81, v77, v74 :: v_dual_add_f32 v60, v92, v95
	v_sub_f32_e32 v86, v25, v45
	v_add_f32_e32 v58, v58, v84
	v_sub_f32_e32 v62, v95, v92
	v_sub_f32_e32 v48, v44, v48
	ds_store_2addr_b32 v156, v94, v60 offset0:92 offset1:141
	v_mul_f32_e32 v60, 0x3f5ff5aa, v73
	v_add_f32_e32 v44, v44, v50
	v_add_f32_e32 v50, v30, v19
	v_sub_f32_e32 v78, v30, v19
	v_add_f32_e32 v26, v26, v46
	v_fma_f32 v60, 0xbeae86e6, v85, -v60
	v_add_f32_e32 v11, v11, v44
	v_mul_f32_e32 v51, 0x3f4a47b2, v51
	v_mul_f32_e32 v78, 0xbf08b237, v78
	v_sub_f32_e32 v20, v20, v43
	v_fmac_f32_e32 v60, 0x3ee1c552, v91
	v_fma_f32 v73, 0x3f5ff5aa, v73, -v89
	v_sub_f32_e32 v83, v32, v39
	v_dual_add_f32 v59, v59, v84 :: v_dual_fmamk_f32 v44, v44, 0xbf955555, v11
	s_delay_alu instid0(VALU_DEP_3) | instskip(SKIP_1) | instid1(VALU_DEP_4)
	v_dual_add_f32 v84, v60, v58 :: v_dual_fmac_f32 v73, 0x3ee1c552, v91
	v_dual_sub_f32 v58, v58, v60 :: v_dual_add_f32 v81, v80, v81
	v_add_f32_e32 v88, v83, v82
	v_dual_sub_f32 v30, v17, v30 :: v_dual_sub_f32 v19, v19, v17
	v_add_f32_e32 v17, v50, v17
	s_delay_alu instid0(VALU_DEP_3) | instskip(SKIP_2) | instid1(VALU_DEP_3)
	v_dual_add_f32 v85, v3, v81 :: v_dual_add_f32 v88, v88, v86
	v_sub_f32_e32 v87, v83, v82
	v_dual_sub_f32 v83, v86, v83 :: v_dual_mul_f32 v50, 0x3d64c772, v48
	v_fmamk_f32 v81, v81, 0xbf955555, v85
	v_fmamk_f32 v48, v48, 0x3d64c772, v51
	s_delay_alu instid0(VALU_DEP_4) | instskip(SKIP_3) | instid1(VALU_DEP_4)
	v_mul_f32_e32 v87, 0xbf08b237, v87
	v_dual_sub_f32 v3, v74, v80 :: v_dual_sub_f32 v80, v80, v77
	v_fma_f32 v50, 0x3f3bfb3b, v31, -v50
	v_add_f32_e32 v32, v39, v32
	v_fmamk_f32 v94, v83, 0x3eae86e6, v87
	s_delay_alu instid0(VALU_DEP_4)
	v_mul_f32_e32 v89, 0x3f4a47b2, v3
	v_sub_f32_e32 v3, v59, v73
	v_add_f32_e32 v59, v73, v59
	v_sub_f32_e32 v73, v82, v86
	v_add_f32_e32 v82, v22, v42
	v_fmac_f32_e32 v94, 0x3ee1c552, v88
	ds_store_2addr_b32 v156, v84, v3 offset0:190 offset1:239
	v_lshl_add_u32 v3, v57, 2, 0
	v_dual_sub_f32 v57, v77, v74 :: v_dual_mul_f32 v74, 0x3d64c772, v80
	v_add_f32_e32 v50, v50, v44
	v_fma_f32 v31, 0xbf3bfb3b, v31, -v51
	s_delay_alu instid0(VALU_DEP_4)
	v_add_nc_u32_e32 v158, 0x1800, v3
	v_mul_f32_e32 v77, 0x3f5ff5aa, v73
	v_fma_f32 v74, 0x3f3bfb3b, v57, -v74
	v_add_f32_e32 v25, v25, v45
	v_add_f32_e32 v31, v31, v44
	;; [unrolled: 1-line block ×3, first 2 shown]
	v_fma_f32 v77, 0xbeae86e6, v83, -v77
	v_add_f32_e32 v83, v21, v18
	v_sub_f32_e32 v27, v27, v47
	v_add_f32_e32 v39, v26, v25
	v_sub_f32_e32 v37, v38, v37
	v_sub_f32_e32 v38, v26, v25
	v_dual_add_f32 v84, v83, v82 :: v_dual_fmamk_f32 v91, v80, 0x3d64c772, v89
	v_dual_add_f32 v74, v74, v81 :: v_dual_sub_f32 v25, v25, v32
	v_sub_f32_e32 v26, v32, v26
	v_add_f32_e32 v32, v32, v39
	s_delay_alu instid0(VALU_DEP_4)
	v_add_f32_e32 v60, v91, v81
	v_fma_f32 v57, 0xbf3bfb3b, v57, -v89
	v_sub_f32_e32 v22, v22, v42
	v_sub_f32_e32 v18, v21, v18
	v_add_f32_e32 v12, v12, v32
	v_add_f32_e32 v80, v94, v60
	v_fma_f32 v73, 0x3f5ff5aa, v73, -v87
	v_add_f32_e32 v57, v57, v81
	v_sub_f32_e32 v87, v24, v41
	v_fmac_f32_e32 v77, 0x3ee1c552, v88
	v_add_nc_u32_e32 v157, 0x1800, v2
	ds_store_2addr_b32 v157, v59, v58 offset0:32 offset1:81
	ds_store_2addr_b32 v158, v85, v80 offset0:179 offset1:228
	v_sub_f32_e32 v85, v35, v34
	v_add_f32_e32 v81, v36, v33
	v_dual_fmac_f32 v73, 0x3ee1c552, v88 :: v_dual_sub_f32 v60, v60, v94
	v_dual_fmamk_f32 v32, v32, 0xbf955555, v12 :: v_dual_add_f32 v39, v37, v20
	s_delay_alu instid0(VALU_DEP_3) | instskip(SKIP_3) | instid1(VALU_DEP_4)
	v_add_f32_e32 v59, v81, v84
	v_sub_f32_e32 v84, v23, v40
	v_dual_sub_f32 v43, v37, v20 :: v_dual_sub_f32 v20, v20, v27
	v_add_f32_e32 v24, v24, v41
	v_add_f32_e32 v86, v0, v59
	s_delay_alu instid0(VALU_DEP_4) | instskip(SKIP_3) | instid1(VALU_DEP_4)
	v_sub_f32_e32 v88, v85, v84
	v_sub_f32_e32 v0, v82, v81
	;; [unrolled: 1-line block ×3, first 2 shown]
	v_dual_sub_f32 v80, v74, v73 :: v_dual_add_f32 v73, v73, v74
	v_mul_f32_e32 v88, 0xbf08b237, v88
	v_dual_add_f32 v89, v85, v84 :: v_dual_sub_f32 v84, v84, v87
	v_mul_f32_e32 v0, 0x3f4a47b2, v0
	v_add_f32_e32 v58, v77, v57
	v_sub_f32_e32 v57, v57, v77
	v_mul_f32_e32 v43, 0xbf08b237, v43
	v_dual_mul_f32 v74, 0x3f5ff5aa, v84 :: v_dual_add_f32 v89, v89, v87
	v_fma_f32 v84, 0x3f5ff5aa, v84, -v88
	v_sub_f32_e32 v81, v81, v83
	v_dual_add_f32 v34, v34, v35 :: v_dual_add_f32 v23, v23, v40
	s_delay_alu instid0(VALU_DEP_3) | instskip(NEXT) | instid1(VALU_DEP_3)
	v_dual_sub_f32 v33, v33, v36 :: v_dual_fmac_f32 v84, 0x3ee1c552, v89
	v_fmamk_f32 v91, v81, 0x3d64c772, v0
	v_mul_f32_e32 v81, 0x3d64c772, v81
	s_delay_alu instid0(VALU_DEP_4) | instskip(SKIP_2) | instid1(VALU_DEP_4)
	v_add_f32_e32 v21, v23, v24
	v_dual_sub_f32 v35, v23, v24 :: v_dual_sub_f32 v24, v24, v34
	v_sub_f32_e32 v36, v33, v18
	v_fma_f32 v81, 0x3f3bfb3b, v82, -v81
	v_sub_f32_e32 v85, v87, v85
	v_fma_f32 v82, 0xbf3bfb3b, v82, -v0
	v_lshl_add_u32 v0, v56, 2, 0
	v_dual_add_f32 v21, v34, v21 :: v_dual_mul_f32 v36, 0xbf08b237, v36
	s_delay_alu instid0(VALU_DEP_4) | instskip(NEXT) | instid1(VALU_DEP_3)
	v_fma_f32 v74, 0xbeae86e6, v85, -v74
	v_dual_sub_f32 v23, v34, v23 :: v_dual_add_nc_u32 v160, 0x2000, v0
	s_delay_alu instid0(VALU_DEP_3) | instskip(SKIP_1) | instid1(VALU_DEP_4)
	v_add_f32_e32 v8, v8, v21
	v_add_f32_e32 v34, v33, v18
	v_fmac_f32_e32 v74, 0x3ee1c552, v89
	v_dual_fmamk_f32 v59, v59, 0xbf955555, v86 :: v_dual_sub_f32 v18, v18, v22
	v_mul_f32_e32 v24, 0x3f4a47b2, v24
	v_fmamk_f32 v21, v21, 0xbf955555, v8
	s_delay_alu instid0(VALU_DEP_3) | instskip(SKIP_3) | instid1(VALU_DEP_4)
	v_add_f32_e32 v56, v81, v59
	v_fmamk_f32 v87, v85, 0x3eae86e6, v88
	v_add_f32_e32 v83, v91, v59
	v_add_f32_e32 v59, v82, v59
	v_dual_sub_f32 v82, v56, v84 :: v_dual_add_nc_u32 v159, 0x1c00, v3
	s_delay_alu instid0(VALU_DEP_4) | instskip(NEXT) | instid1(VALU_DEP_3)
	v_dual_fmac_f32 v87, 0x3ee1c552, v89 :: v_dual_add_f32 v56, v84, v56
	v_add_f32_e32 v81, v74, v59
	v_sub_f32_e32 v99, v70, v64
	v_sub_f32_e32 v59, v59, v74
	s_delay_alu instid0(VALU_DEP_4)
	v_add_f32_e32 v77, v87, v83
	ds_store_2addr_b32 v159, v58, v80 offset0:21 offset1:70
	ds_store_2addr_b32 v159, v73, v57 offset0:119 offset1:168
	;; [unrolled: 1-line block ×5, first 2 shown]
	v_add_f32_e32 v56, v67, v65
	v_add_f32_e32 v58, v101, v100
	s_delay_alu instid0(VALU_DEP_2) | instskip(NEXT) | instid1(VALU_DEP_2)
	v_dual_sub_f32 v57, v66, v68 :: v_dual_sub_f32 v102, v56, v101
	v_dual_add_f32 v58, v56, v58 :: v_dual_sub_f32 v61, v75, v93
	s_delay_alu instid0(VALU_DEP_2) | instskip(NEXT) | instid1(VALU_DEP_2)
	v_mul_f32_e32 v170, 0x3d64c772, v102
	v_add_f32_e32 v9, v9, v58
	s_delay_alu instid0(VALU_DEP_1) | instskip(SKIP_1) | instid1(VALU_DEP_1)
	v_fmamk_f32 v165, v58, 0xbf955555, v9
	v_dual_sub_f32 v63, v100, v56 :: v_dual_sub_f32 v56, v57, v99
	v_dual_mul_f32 v163, 0xbf08b237, v56 :: v_dual_sub_f32 v56, v83, v87
	v_sub_f32_e32 v168, v99, v98
	v_dual_sub_f32 v59, v76, v90 :: v_dual_add_f32 v64, v57, v99
	v_sub_f32_e32 v161, v98, v57
	ds_store_b32 v4, v59 offset:3920
	ds_store_b32 v5, v61 offset:5292
	;; [unrolled: 1-line block ×5, first 2 shown]
	v_dual_mul_f32 v171, 0x3f5ff5aa, v168 :: v_dual_add_f32 v164, v64, v98
	v_fmamk_f32 v166, v161, 0x3eae86e6, v163
	v_fma_f32 v163, 0x3f5ff5aa, v168, -v163
	global_wb scope:SCOPE_SE
	s_wait_dscnt 0x0
	v_fma_f32 v161, 0xbeae86e6, v161, -v171
	s_barrier_signal -1
	v_fmac_f32_e32 v166, 0x3ee1c552, v164
	v_sub_f32_e32 v169, v101, v100
	s_barrier_wait -1
	v_fmac_f32_e32 v161, 0x3ee1c552, v164
	global_inv scope:SCOPE_SE
	v_fma_f32 v170, 0x3f3bfb3b, v169, -v170
	s_delay_alu instid0(VALU_DEP_1) | instskip(SKIP_1) | instid1(VALU_DEP_1)
	v_add_f32_e32 v168, v170, v165
	v_mul_f32_e32 v162, 0x3f4a47b2, v63
	v_fmamk_f32 v57, v102, 0x3d64c772, v162
	v_fma_f32 v162, 0xbf3bfb3b, v169, -v162
	s_delay_alu instid0(VALU_DEP_2) | instskip(NEXT) | instid1(VALU_DEP_2)
	v_add_f32_e32 v167, v57, v165
	v_add_f32_e32 v162, v162, v165
	v_sub_f32_e32 v129, v152, v129
	v_fmac_f32_e32 v163, 0x3ee1c552, v164
	ds_load_b32 v151, v53 offset:9408
	ds_load_2addr_b32 v[56:57], v53 offset1:49
	ds_load_2addr_b32 v[64:65], v137 offset0:38 offset1:87
	ds_load_2addr_b32 v[62:63], v134 offset0:174 offset1:223
	;; [unrolled: 1-line block ×19, first 2 shown]
	v_dual_sub_f32 v164, v167, v166 :: v_dual_sub_f32 v165, v162, v161
	ds_load_2addr_b32 v[98:99], v136 offset0:206 offset1:255
	v_add_f32_e32 v169, v163, v168
	ds_load_2addr_b32 v[100:101], v134 offset0:76 offset1:125
	ds_load_2addr_b32 v[104:105], v107 offset0:122 offset1:171
	;; [unrolled: 1-line block ×3, first 2 shown]
	global_wb scope:SCOPE_SE
	s_wait_dscnt 0x0
	s_barrier_signal -1
	s_barrier_wait -1
	global_inv scope:SCOPE_SE
	ds_store_2addr_b32 v53, v9, v164 offset1:49
	ds_store_2addr_b32 v53, v165, v169 offset0:98 offset1:147
	v_add_f32_e32 v9, v144, v145
	v_dual_sub_f32 v145, v6, v1 :: v_dual_add_f32 v144, v161, v162
	s_delay_alu instid0(VALU_DEP_2) | instskip(SKIP_2) | instid1(VALU_DEP_3)
	v_add_f32_e32 v130, v9, v130
	v_sub_f32_e32 v1, v1, v9
	v_sub_f32_e32 v6, v9, v6
	v_dual_add_f32 v9, v10, v130 :: v_dual_add_f32 v10, v143, v127
	v_sub_f32_e32 v127, v127, v129
	s_delay_alu instid0(VALU_DEP_4) | instskip(NEXT) | instid1(VALU_DEP_3)
	v_mul_f32_e32 v1, 0x3f4a47b2, v1
	v_dual_sub_f32 v143, v129, v143 :: v_dual_add_f32 v10, v10, v129
	v_mul_f32_e32 v129, 0x3d64c772, v6
	s_delay_alu instid0(VALU_DEP_4) | instskip(NEXT) | instid1(VALU_DEP_4)
	v_mul_f32_e32 v152, 0x3f5ff5aa, v127
	v_fmamk_f32 v6, v6, 0x3d64c772, v1
	v_fma_f32 v1, 0xbf3bfb3b, v145, -v1
	v_fma_f32 v127, 0x3f5ff5aa, v127, -v146
	;; [unrolled: 1-line block ×4, first 2 shown]
	v_fmamk_f32 v143, v143, 0x3eae86e6, v146
	s_delay_alu instid0(VALU_DEP_4) | instskip(NEXT) | instid1(VALU_DEP_3)
	v_fmac_f32_e32 v127, 0x3ee1c552, v10
	v_fmac_f32_e32 v145, 0x3ee1c552, v10
	s_delay_alu instid0(VALU_DEP_3)
	v_dual_fmac_f32 v143, 0x3ee1c552, v10 :: v_dual_add_f32 v10, v166, v167
	ds_store_2addr_b32 v137, v10, v9 offset0:38 offset1:87
	v_add_f32_e32 v10, v148, v113
	v_dual_sub_f32 v131, v168, v163 :: v_dual_fmamk_f32 v130, v130, 0xbf955555, v9
	v_add_f32_e32 v9, v150, v117
	v_sub_f32_e32 v117, v122, v128
	ds_store_2addr_b32 v53, v131, v144 offset0:196 offset1:245
	v_add_f32_e32 v6, v6, v130
	v_add_f32_e32 v1, v1, v130
	;; [unrolled: 1-line block ×3, first 2 shown]
	v_dual_sub_f32 v122, v117, v112 :: v_dual_add_f32 v113, v10, v9
	s_delay_alu instid0(VALU_DEP_4) | instskip(NEXT) | instid1(VALU_DEP_4)
	v_sub_f32_e32 v130, v6, v143
	v_sub_f32_e32 v144, v1, v145
	v_dual_add_f32 v1, v145, v1 :: v_dual_add_f32 v6, v143, v6
	s_delay_alu instid0(VALU_DEP_4)
	v_dual_add_f32 v131, v127, v129 :: v_dual_mul_f32 v122, 0xbf08b237, v122
	v_sub_f32_e32 v127, v129, v127
	ds_store_2addr_b32 v137, v130, v144 offset0:136 offset1:185
	ds_store_2addr_b32 v114, v131, v127 offset0:106 offset1:155
	;; [unrolled: 1-line block ×3, first 2 shown]
	v_dual_sub_f32 v1, v149, v118 :: v_dual_add_f32 v6, v124, v123
	s_delay_alu instid0(VALU_DEP_1) | instskip(SKIP_2) | instid1(VALU_DEP_4)
	v_dual_sub_f32 v118, v10, v9 :: v_dual_sub_f32 v9, v9, v6
	v_sub_f32_e32 v10, v6, v10
	v_dual_add_f32 v6, v6, v113 :: v_dual_add_f32 v113, v117, v112
	v_sub_f32_e32 v112, v112, v1
	v_sub_f32_e32 v117, v1, v117
	v_mul_f32_e32 v9, 0x3f4a47b2, v9
	s_delay_alu instid0(VALU_DEP_4)
	v_add_f32_e32 v13, v13, v6
	v_add_f32_e32 v1, v113, v1
	v_mul_f32_e32 v113, 0x3d64c772, v10
	v_mul_f32_e32 v123, 0x3f5ff5aa, v112
	v_fmamk_f32 v10, v10, 0x3d64c772, v9
	v_fmamk_f32 v6, v6, 0xbf955555, v13
	v_fma_f32 v112, 0x3f5ff5aa, v112, -v122
	v_fma_f32 v113, 0x3f3bfb3b, v118, -v113
	;; [unrolled: 1-line block ×4, first 2 shown]
	v_fmamk_f32 v117, v117, 0x3eae86e6, v122
	s_delay_alu instid0(VALU_DEP_4) | instskip(NEXT) | instid1(VALU_DEP_4)
	v_dual_fmac_f32 v112, 0x3ee1c552, v1 :: v_dual_add_f32 v113, v113, v6
	v_add_f32_e32 v9, v9, v6
	s_delay_alu instid0(VALU_DEP_3) | instskip(SKIP_1) | instid1(VALU_DEP_4)
	v_dual_add_f32 v6, v10, v6 :: v_dual_fmac_f32 v117, 0x3ee1c552, v1
	v_fmac_f32_e32 v118, 0x3ee1c552, v1
	v_dual_add_f32 v1, v112, v113 :: v_dual_sub_f32 v10, v113, v112
	s_delay_alu instid0(VALU_DEP_3) | instskip(SKIP_3) | instid1(VALU_DEP_3)
	v_dual_sub_f32 v113, v6, v117 :: v_dual_add_f32 v6, v117, v6
	v_dual_sub_f32 v117, v28, v15 :: v_dual_sub_f32 v28, v109, v28
	v_sub_f32_e32 v15, v15, v109
	v_dual_add_f32 v109, v110, v109 :: v_dual_mul_f32 v110, 0x3d64c772, v108
	v_dual_mul_f32 v117, 0xbf08b237, v117 :: v_dual_sub_f32 v112, v9, v118
	s_delay_alu instid0(VALU_DEP_3) | instskip(NEXT) | instid1(VALU_DEP_3)
	v_dual_add_f32 v9, v118, v9 :: v_dual_mul_f32 v118, 0x3f5ff5aa, v15
	v_fma_f32 v110, 0x3f3bfb3b, v29, -v110
	s_delay_alu instid0(VALU_DEP_3)
	v_fma_f32 v15, 0x3f5ff5aa, v15, -v117
	v_fmamk_f32 v108, v108, 0x3d64c772, v16
	v_fma_f32 v16, 0xbf3bfb3b, v29, -v16
	v_fma_f32 v29, 0xbeae86e6, v28, -v118
	v_fmamk_f32 v28, v28, 0x3eae86e6, v117
	v_dual_add_f32 v110, v110, v79 :: v_dual_fmac_f32 v15, 0x3ee1c552, v109
	s_delay_alu instid0(VALU_DEP_3) | instskip(NEXT) | instid1(VALU_DEP_3)
	v_dual_add_f32 v16, v16, v79 :: v_dual_fmac_f32 v29, 0x3ee1c552, v109
	v_dual_add_f32 v79, v108, v79 :: v_dual_fmac_f32 v28, 0x3ee1c552, v109
	s_delay_alu instid0(VALU_DEP_3) | instskip(NEXT) | instid1(VALU_DEP_3)
	v_dual_add_f32 v108, v15, v110 :: v_dual_sub_f32 v15, v110, v15
	v_dual_sub_f32 v109, v16, v29 :: v_dual_add_f32 v16, v29, v16
	s_delay_alu instid0(VALU_DEP_3) | instskip(SKIP_2) | instid1(VALU_DEP_2)
	v_dual_sub_f32 v29, v79, v28 :: v_dual_add_f32 v28, v28, v79
	v_mul_f32_e32 v79, 0x3f5ff5aa, v19
	v_fma_f32 v19, 0x3f5ff5aa, v19, -v78
	v_fma_f32 v51, 0xbeae86e6, v30, -v79
	v_fmamk_f32 v30, v30, 0x3eae86e6, v78
	s_delay_alu instid0(VALU_DEP_2) | instskip(NEXT) | instid1(VALU_DEP_1)
	v_fmac_f32_e32 v51, 0x3ee1c552, v17
	v_dual_sub_f32 v48, v31, v51 :: v_dual_fmac_f32 v19, 0x3ee1c552, v17
	s_delay_alu instid0(VALU_DEP_1) | instskip(NEXT) | instid1(VALU_DEP_1)
	v_dual_fmac_f32 v30, 0x3ee1c552, v17 :: v_dual_add_f32 v17, v19, v50
	v_dual_sub_f32 v19, v50, v19 :: v_dual_sub_f32 v50, v44, v30
	v_add_f32_e32 v30, v30, v44
	v_dual_mul_f32 v44, 0x3f5ff5aa, v20 :: v_dual_sub_f32 v37, v27, v37
	v_add_f32_e32 v27, v39, v27
	v_mul_f32_e32 v39, 0x3d64c772, v26
	v_fma_f32 v20, 0x3f5ff5aa, v20, -v43
	s_delay_alu instid0(VALU_DEP_2) | instskip(NEXT) | instid1(VALU_DEP_1)
	v_fma_f32 v39, 0x3f3bfb3b, v38, -v39
	v_dual_fmac_f32 v20, 0x3ee1c552, v27 :: v_dual_add_f32 v39, v39, v32
	v_mul_f32_e32 v25, 0x3f4a47b2, v25
	s_delay_alu instid0(VALU_DEP_1) | instskip(SKIP_1) | instid1(VALU_DEP_2)
	v_dual_add_f32 v31, v51, v31 :: v_dual_fmamk_f32 v26, v26, 0x3d64c772, v25
	v_fma_f32 v25, 0xbf3bfb3b, v38, -v25
	v_add_f32_e32 v26, v26, v32
	v_fma_f32 v38, 0xbeae86e6, v37, -v44
	v_fmamk_f32 v37, v37, 0x3eae86e6, v43
	s_delay_alu instid0(VALU_DEP_2) | instskip(NEXT) | instid1(VALU_DEP_1)
	v_dual_add_f32 v25, v25, v32 :: v_dual_fmac_f32 v38, 0x3ee1c552, v27
	v_dual_sub_f32 v32, v25, v38 :: v_dual_fmac_f32 v37, 0x3ee1c552, v27
	v_add_f32_e32 v27, v20, v39
	v_dual_add_f32 v25, v38, v25 :: v_dual_sub_f32 v20, v39, v20
	s_delay_alu instid0(VALU_DEP_3)
	v_sub_f32_e32 v38, v26, v37
	v_add_f32_e32 v26, v37, v26
	v_mul_f32_e32 v37, 0x3f5ff5aa, v18
	v_fma_f32 v18, 0x3f5ff5aa, v18, -v36
	v_sub_f32_e32 v33, v22, v33
	v_add_f32_e32 v22, v34, v22
	v_mul_f32_e32 v34, 0x3d64c772, v23
	s_delay_alu instid0(VALU_DEP_2) | instskip(NEXT) | instid1(VALU_DEP_2)
	v_fmac_f32_e32 v18, 0x3ee1c552, v22
	v_fma_f32 v34, 0x3f3bfb3b, v35, -v34
	v_fmamk_f32 v23, v23, 0x3d64c772, v24
	v_fma_f32 v24, 0xbf3bfb3b, v35, -v24
	s_delay_alu instid0(VALU_DEP_3) | instskip(NEXT) | instid1(VALU_DEP_2)
	v_add_f32_e32 v34, v34, v21
	v_add_f32_e32 v24, v24, v21
	v_fma_f32 v35, 0xbeae86e6, v33, -v37
	v_fmamk_f32 v33, v33, 0x3eae86e6, v36
	s_delay_alu instid0(VALU_DEP_1) | instskip(NEXT) | instid1(VALU_DEP_3)
	v_fmac_f32_e32 v33, 0x3ee1c552, v22
	v_fmac_f32_e32 v35, 0x3ee1c552, v22
	v_dual_add_f32 v22, v18, v34 :: v_dual_add_f32 v21, v23, v21
	v_sub_f32_e32 v18, v34, v18
	s_delay_alu instid0(VALU_DEP_2)
	v_dual_sub_f32 v34, v21, v33 :: v_dual_sub_f32 v23, v24, v35
	v_dual_add_f32 v24, v35, v24 :: v_dual_add_f32 v21, v33, v21
	ds_store_2addr_b32 v7, v13, v113 offset0:174 offset1:223
	ds_store_2addr_b32 v154, v112, v1 offset0:16 offset1:65
	;; [unrolled: 1-line block ×15, first 2 shown]
	ds_store_b32 v4, v6 offset:3920
	ds_store_b32 v5, v28 offset:5292
	;; [unrolled: 1-line block ×5, first 2 shown]
	global_wb scope:SCOPE_SE
	s_wait_dscnt 0x0
	s_barrier_signal -1
	s_barrier_wait -1
	global_inv scope:SCOPE_SE
	s_and_saveexec_b32 s0, vcc_lo
	s_cbranch_execz .LBB0_13
; %bb.12:
	v_mul_u32_u24_e32 v0, 6, v142
	v_mad_u32_u24 v78, v142, 6, 0xfffffeda
	v_add_co_u32 v112, s0, s4, v49
	s_wait_alu 0xf1fe
	v_add_co_ci_u32_e64 v113, null, s5, 0, s0
	v_dual_mov_b32 v79, 0 :: v_dual_lshlrev_b32 v8, 3, v0
	s_clause 0x2
	global_load_b128 v[0:3], v8, s[4:5] offset:2688
	global_load_b128 v[4:7], v8, s[4:5] offset:2720
	;; [unrolled: 1-line block ×3, first 2 shown]
	v_lshlrev_b64_e32 v[12:13], 3, v[78:79]
	v_mad_u32_u24 v78, v142, 6, 0xfffffdb4
	s_delay_alu instid0(VALU_DEP_1) | instskip(NEXT) | instid1(VALU_DEP_3)
	v_lshlrev_b64_e32 v[24:25], 3, v[78:79]
	v_add_co_u32 v20, vcc_lo, s4, v12
	s_wait_alu 0xfffd
	s_delay_alu instid0(VALU_DEP_4)
	v_add_co_ci_u32_e32 v21, vcc_lo, s5, v13, vcc_lo
	s_clause 0x2
	global_load_b128 v[12:15], v[20:21], off offset:2688
	global_load_b128 v[16:19], v[20:21], off offset:2720
	;; [unrolled: 1-line block ×3, first 2 shown]
	v_add_co_u32 v24, vcc_lo, s4, v24
	s_wait_alu 0xfffd
	v_add_co_ci_u32_e32 v25, vcc_lo, s5, v25, vcc_lo
	s_clause 0x2
	global_load_b128 v[28:31], v[24:25], off offset:2688
	global_load_b128 v[32:35], v[24:25], off offset:2720
	;; [unrolled: 1-line block ×3, first 2 shown]
	v_mad_u32_u24 v78, v142, 6, 0xfffffc8e
	ds_load_2addr_b32 v[128:129], v134 offset0:76 offset1:125
	ds_load_b32 v143, v53 offset:9408
	ds_load_2addr_b32 v[108:109], v116 offset0:130 offset1:179
	ds_load_2addr_b32 v[130:131], v107 offset0:122 offset1:171
	;; [unrolled: 1-line block ×15, first 2 shown]
	v_lshlrev_b64_e32 v[24:25], 3, v[78:79]
	v_mad_u32_u24 v78, v142, 6, 0xfffffb68
	s_delay_alu instid0(VALU_DEP_2) | instskip(SKIP_1) | instid1(VALU_DEP_3)
	v_add_co_u32 v42, vcc_lo, s4, v24
	s_wait_alu 0xfffd
	v_add_co_ci_u32_e32 v43, vcc_lo, s5, v25, vcc_lo
	s_delay_alu instid0(VALU_DEP_3)
	v_lshlrev_b64_e32 v[40:41], 3, v[78:79]
	v_mad_u32_u24 v78, v142, 6, 0xfffffa42
	s_clause 0x2
	global_load_b128 v[24:27], v[112:113], off offset:2720
	global_load_b128 v[144:147], v[42:43], off offset:2688
	global_load_b128 v[152:155], v[42:43], off offset:2704
	v_lshlrev_b64_e32 v[44:45], 3, v[78:79]
	v_add_co_u32 v40, vcc_lo, s4, v40
	s_wait_alu 0xfffd
	v_add_co_ci_u32_e32 v41, vcc_lo, s5, v41, vcc_lo
	s_delay_alu instid0(VALU_DEP_3)
	v_add_co_u32 v176, vcc_lo, s4, v44
	s_wait_alu 0xfffd
	v_add_co_ci_u32_e32 v177, vcc_lo, s5, v45, vcc_lo
	s_clause 0x6
	global_load_b128 v[156:159], v[42:43], off offset:2720
	global_load_b128 v[160:163], v[40:41], off offset:2688
	;; [unrolled: 1-line block ×7, first 2 shown]
	v_add_co_u32 v54, vcc_lo, s8, v54
	s_wait_loadcnt_dscnt 0x1210
	v_mul_f32_e32 v78, v1, v129
	s_wait_loadcnt_dscnt 0x110b
	v_dual_mul_f32 v150, v7, v143 :: v_dual_mul_f32 v179, v5, v133
	s_wait_loadcnt 0x10
	v_dual_mul_f32 v176, v11, v108 :: v_dual_mul_f32 v177, v9, v131
	v_dual_mul_f32 v178, v3, v106 :: v_dual_mul_f32 v129, v0, v129
	v_mul_f32_e32 v143, v6, v143
	v_dual_mul_f32 v131, v8, v131 :: v_dual_mul_f32 v108, v10, v108
	v_dual_mul_f32 v133, v4, v133 :: v_dual_mul_f32 v106, v2, v106
	v_fma_f32 v0, v101, v0, -v78
	v_fma_f32 v6, v151, v6, -v150
	v_fma_f32 v10, v66, v10, -v176
	v_fma_f32 v8, v105, v8, -v177
	v_fma_f32 v2, v58, v2, -v178
	v_fma_f32 v4, v103, v4, -v179
	v_fmac_f32_e32 v143, v151, v7
	v_dual_fmac_f32 v129, v101, v1 :: v_dual_fmac_f32 v108, v66, v11
	v_dual_fmac_f32 v131, v105, v9 :: v_dual_fmac_f32 v106, v58, v3
	s_wait_loadcnt 0xf
	v_dual_fmac_f32 v133, v103, v5 :: v_dual_mul_f32 v66, v12, v128
	s_wait_loadcnt 0xd
	v_dual_mul_f32 v1, v13, v128 :: v_dual_mul_f32 v78, v20, v130
	s_wait_dscnt 0x9
	v_dual_mul_f32 v3, v19, v149 :: v_dual_sub_f32 v128, v0, v6
	s_wait_dscnt 0x8
	v_mul_f32_e32 v5, v23, v173
	v_mul_f32_e32 v7, v21, v130
	s_wait_dscnt 0x7
	v_dual_mul_f32 v9, v15, v175 :: v_dual_add_f32 v0, v0, v6
	v_dual_mul_f32 v11, v17, v132 :: v_dual_add_f32 v150, v108, v131
	v_mul_f32_e32 v58, v18, v149
	v_mul_f32_e32 v101, v22, v173
	;; [unrolled: 1-line block ×3, first 2 shown]
	v_dual_mul_f32 v105, v14, v175 :: v_dual_fmac_f32 v66, v100, v13
	v_sub_f32_e32 v130, v10, v8
	v_dual_sub_f32 v132, v2, v4 :: v_dual_add_f32 v149, v129, v143
	v_add_f32_e32 v6, v10, v8
	v_dual_add_f32 v151, v106, v133 :: v_dual_sub_f32 v8, v108, v131
	v_add_f32_e32 v2, v2, v4
	v_sub_f32_e32 v4, v129, v143
	v_dual_fmac_f32 v101, v97, v23 :: v_dual_sub_f32 v10, v106, v133
	v_fma_f32 v1, v100, v12, -v1
	v_fma_f32 v3, v99, v18, -v3
	;; [unrolled: 1-line block ×6, first 2 shown]
	v_dual_fmac_f32 v58, v99, v19 :: v_dual_fmac_f32 v103, v102, v17
	v_dual_fmac_f32 v78, v104, v21 :: v_dual_fmac_f32 v105, v95, v15
	s_wait_loadcnt_dscnt 0xb05
	v_dual_mul_f32 v12, v29, v123 :: v_dual_mul_f32 v13, v35, v148
	s_wait_loadcnt_dscnt 0xa04
	v_dual_mul_f32 v14, v39, v172 :: v_dual_mul_f32 v15, v37, v119
	s_wait_dscnt 0x3
	v_dual_mul_f32 v16, v31, v174 :: v_dual_mul_f32 v17, v33, v121
	v_dual_mul_f32 v18, v34, v148 :: v_dual_mul_f32 v19, v28, v123
	;; [unrolled: 1-line block ×4, first 2 shown]
	v_dual_sub_f32 v95, v128, v130 :: v_dual_sub_f32 v102, v150, v151
	v_dual_sub_f32 v97, v130, v132 :: v_dual_sub_f32 v100, v149, v150
	v_dual_add_f32 v99, v130, v132 :: v_dual_add_f32 v104, v149, v151
	v_dual_sub_f32 v106, v0, v6 :: v_dual_sub_f32 v131, v1, v3
	v_dual_sub_f32 v108, v6, v2 :: v_dual_sub_f32 v121, v4, v8
	v_dual_add_f32 v119, v0, v2 :: v_dual_sub_f32 v130, v151, v149
	v_dual_sub_f32 v123, v8, v10 :: v_dual_sub_f32 v2, v2, v0
	v_dual_add_f32 v8, v8, v10 :: v_dual_add_f32 v1, v1, v3
	v_dual_sub_f32 v129, v132, v128 :: v_dual_sub_f32 v0, v5, v7
	v_dual_sub_f32 v10, v10, v4 :: v_dual_add_f32 v143, v101, v78
	v_dual_sub_f32 v132, v9, v11 :: v_dual_add_f32 v133, v66, v58
	v_add_f32_e32 v148, v105, v103
	v_dual_add_f32 v3, v5, v7 :: v_dual_fmac_f32 v20, v87, v37
	v_add_f32_e32 v5, v9, v11
	v_sub_f32_e32 v7, v66, v58
	v_dual_sub_f32 v9, v101, v78 :: v_dual_fmac_f32 v18, v98, v35
	v_sub_f32_e32 v11, v105, v103
	v_fma_f32 v12, v91, v28, -v12
	v_fma_f32 v13, v98, v34, -v13
	;; [unrolled: 1-line block ×5, first 2 shown]
	v_mul_f32_e32 v30, 0x3f4a47b2, v100
	v_fma_f32 v17, v89, v32, -v17
	v_dual_fmac_f32 v19, v91, v29 :: v_dual_add_f32 v32, v150, v104
	v_dual_fmac_f32 v21, v96, v39 :: v_dual_fmac_f32 v22, v89, v33
	v_dual_fmac_f32 v23, v94, v31 :: v_dual_mul_f32 v34, 0x3d64c772, v108
	v_dual_mul_f32 v28, 0xbf08b237, v97 :: v_dual_add_f32 v29, v128, v99
	v_dual_mul_f32 v31, 0x3d64c772, v102 :: v_dual_add_f32 v6, v6, v119
	;; [unrolled: 1-line block ×3, first 2 shown]
	v_dual_mul_f32 v35, 0xbf08b237, v123 :: v_dual_sub_f32 v38, v0, v132
	v_mul_f32_e32 v8, 0x3f5ff5aa, v129
	v_dual_mul_f32 v36, 0x3f5ff5aa, v10 :: v_dual_sub_f32 v37, v131, v0
	v_dual_add_f32 v39, v0, v132 :: v_dual_sub_f32 v58, v133, v143
	v_dual_sub_f32 v66, v143, v148 :: v_dual_sub_f32 v87, v1, v3
	v_dual_add_f32 v78, v133, v148 :: v_dual_sub_f32 v89, v3, v5
	v_add_f32_e32 v91, v1, v5
	v_sub_f32_e32 v94, v7, v9
	v_dual_sub_f32 v96, v9, v11 :: v_dual_sub_f32 v99, v12, v13
	v_add_f32_e32 v9, v9, v11
	v_dual_sub_f32 v97, v132, v131 :: v_dual_add_f32 v104, v21, v20
	v_dual_sub_f32 v98, v148, v133 :: v_dual_sub_f32 v11, v11, v7
	v_dual_sub_f32 v101, v14, v15 :: v_dual_sub_f32 v102, v16, v17
	v_dual_add_f32 v103, v19, v18 :: v_dual_add_f32 v12, v12, v13
	v_add_f32_e32 v105, v23, v22
	v_dual_add_f32 v13, v14, v15 :: v_dual_add_f32 v14, v16, v17
	v_sub_f32_e32 v16, v21, v20
	v_dual_sub_f32 v5, v5, v1 :: v_dual_fmamk_f32 v20, v106, 0x3f4a47b2, v34
	v_sub_f32_e32 v15, v19, v18
	v_sub_f32_e32 v17, v23, v22
	v_dual_fmamk_f32 v18, v95, 0x3eae86e6, v28 :: v_dual_add_f32 v1, v110, v32
	v_dual_add_f32 v0, v64, v6 :: v_dual_fmamk_f32 v21, v121, 0x3eae86e6, v35
	v_fma_f32 v22, 0xbeae86e6, v95, -v8
	v_fma_f32 v8, 0xbf3bfb3b, v130, -v30
	v_fma_f32 v23, 0xbf3bfb3b, v2, -v33
	v_fma_f32 v30, 0xbeae86e6, v121, -v36
	v_fma_f32 v28, 0x3f5ff5aa, v129, -v28
	v_fma_f32 v10, 0x3f5ff5aa, v10, -v35
	v_fma_f32 v33, 0x3f3bfb3b, v2, -v34
	v_dual_mul_f32 v34, 0xbf08b237, v38 :: v_dual_add_f32 v35, v131, v39
	v_dual_mul_f32 v38, 0x3d64c772, v66 :: v_dual_add_f32 v7, v7, v9
	v_dual_add_f32 v39, v143, v78 :: v_dual_sub_f32 v106, v104, v105
	v_mul_f32_e32 v66, 0x3d64c772, v89
	v_dual_add_f32 v78, v3, v91 :: v_dual_mul_f32 v89, 0xbf08b237, v96
	v_dual_sub_f32 v96, v101, v102 :: v_dual_mul_f32 v9, 0x3f5ff5aa, v97
	v_dual_mul_f32 v91, 0x3f5ff5aa, v11 :: v_dual_add_f32 v108, v103, v105
	v_add_f32_e32 v121, v12, v14
	v_dual_fmamk_f32 v19, v100, 0x3f4a47b2, v31 :: v_dual_mul_f32 v36, 0x3f4a47b2, v58
	v_fma_f32 v31, 0x3f3bfb3b, v130, -v31
	v_dual_mul_f32 v64, 0x3f4a47b2, v87 :: v_dual_sub_f32 v95, v99, v101
	v_add_f32_e32 v100, v101, v102
	v_dual_sub_f32 v102, v102, v99 :: v_dual_sub_f32 v101, v103, v104
	v_dual_sub_f32 v110, v12, v13 :: v_dual_sub_f32 v119, v13, v14
	;; [unrolled: 1-line block ×3, first 2 shown]
	v_dual_add_f32 v16, v16, v17 :: v_dual_sub_f32 v103, v105, v103
	v_fmac_f32_e32 v18, 0x3ee1c552, v29
	v_sub_f32_e32 v12, v14, v12
	v_dual_sub_f32 v14, v17, v15 :: v_dual_fmamk_f32 v17, v32, 0xbf955555, v1
	v_dual_fmamk_f32 v6, v6, 0xbf955555, v0 :: v_dual_add_f32 v3, v117, v39
	v_dual_fmac_f32 v21, 0x3ee1c552, v4 :: v_dual_fmac_f32 v22, 0x3ee1c552, v29
	v_fmac_f32_e32 v30, 0x3ee1c552, v4
	v_fmac_f32_e32 v28, 0x3ee1c552, v29
	v_fmamk_f32 v32, v37, 0x3eae86e6, v34
	v_dual_fmamk_f32 v29, v58, 0x3f4a47b2, v38 :: v_dual_add_f32 v2, v93, v78
	v_fmamk_f32 v58, v87, 0x3f4a47b2, v66
	v_fmamk_f32 v87, v94, 0x3eae86e6, v89
	v_fma_f32 v37, 0xbeae86e6, v37, -v9
	v_fma_f32 v91, 0xbeae86e6, v94, -v91
	;; [unrolled: 1-line block ×3, first 2 shown]
	v_dual_mul_f32 v9, 0x3d64c772, v106 :: v_dual_add_f32 v94, v104, v108
	v_dual_add_f32 v97, v13, v121 :: v_dual_fmac_f32 v10, 0x3ee1c552, v4
	v_add_f32_e32 v19, v19, v17
	v_fma_f32 v36, 0xbf3bfb3b, v98, -v36
	v_fma_f32 v64, 0xbf3bfb3b, v5, -v64
	;; [unrolled: 1-line block ×5, first 2 shown]
	v_dual_mul_f32 v4, 0xbf08b237, v96 :: v_dual_add_f32 v23, v23, v6
	v_add_f32_e32 v93, v99, v100
	v_mul_f32_e32 v5, 0x3f4a47b2, v101
	v_dual_mul_f32 v11, 0x3f4a47b2, v110 :: v_dual_add_f32 v98, v15, v16
	v_dual_mul_f32 v96, 0x3d64c772, v119 :: v_dual_add_f32 v31, v31, v17
	;; [unrolled: 1-line block ×5, first 2 shown]
	v_dual_add_f32 v33, v33, v6 :: v_dual_fmac_f32 v32, 0x3ee1c552, v35
	v_dual_fmamk_f32 v39, v39, 0xbf955555, v3 :: v_dual_fmamk_f32 v78, v78, 0xbf955555, v2
	v_dual_fmac_f32 v34, 0x3ee1c552, v35 :: v_dual_add_f32 v17, v116, v94
	v_fmac_f32_e32 v87, 0x3ee1c552, v7
	v_dual_fmac_f32 v37, 0x3ee1c552, v35 :: v_dual_sub_f32 v6, v23, v30
	v_dual_fmac_f32 v91, 0x3ee1c552, v7 :: v_dual_add_f32 v8, v10, v33
	v_dual_fmac_f32 v89, 0x3ee1c552, v7 :: v_dual_sub_f32 v10, v33, v10
	v_fmamk_f32 v108, v95, 0x3eae86e6, v4
	v_fmamk_f32 v35, v101, 0x3f4a47b2, v9
	;; [unrolled: 1-line block ×3, first 2 shown]
	v_dual_fmamk_f32 v110, v123, 0x3eae86e6, v13 :: v_dual_add_f32 v7, v22, v100
	v_fma_f32 v95, 0xbeae86e6, v95, -v15
	v_fma_f32 v92, 0xbf3bfb3b, v103, -v5
	;; [unrolled: 1-line block ×8, first 2 shown]
	v_add_f32_e32 v5, v18, v19
	v_dual_sub_f32 v9, v31, v28 :: v_dual_add_f32 v58, v58, v78
	v_dual_add_f32 v11, v28, v31 :: v_dual_fmac_f32 v108, 0x3ee1c552, v93
	v_dual_sub_f32 v13, v100, v22 :: v_dual_add_f32 v28, v38, v39
	v_dual_add_f32 v12, v30, v23 :: v_dual_sub_f32 v15, v19, v18
	v_add_f32_e32 v30, v36, v39
	v_dual_add_f32 v33, v29, v39 :: v_dual_add_f32 v36, v64, v78
	v_dual_add_f32 v31, v66, v78 :: v_dual_fmac_f32 v102, 0x3ee1c552, v93
	v_dual_fmamk_f32 v38, v94, 0xbf955555, v17 :: v_dual_fmamk_f32 v39, v97, 0xbf955555, v16
	v_sub_f32_e32 v4, v20, v21
	s_delay_alu instid0(VALU_DEP_4)
	v_dual_fmac_f32 v116, 0x3ee1c552, v98 :: v_dual_add_f32 v19, v32, v33
	v_dual_fmac_f32 v103, 0x3ee1c552, v98 :: v_dual_sub_f32 v18, v58, v87
	v_dual_sub_f32 v23, v28, v34 :: v_dual_add_f32 v22, v89, v31
	v_dual_add_f32 v29, v34, v28 :: v_dual_sub_f32 v28, v31, v89
	v_dual_sub_f32 v33, v33, v32 :: v_dual_add_f32 v32, v87, v58
	v_dual_add_f32 v58, v35, v38 :: v_dual_add_f32 v89, v96, v39
	v_add_f32_e32 v14, v21, v20
	v_dual_fmac_f32 v110, 0x3ee1c552, v98 :: v_dual_fmac_f32 v95, 0x3ee1c552, v93
	v_dual_add_f32 v21, v37, v30 :: v_dual_sub_f32 v20, v36, v91
	v_dual_sub_f32 v31, v30, v37 :: v_dual_add_f32 v30, v91, v36
	v_dual_add_f32 v64, v101, v39 :: v_dual_add_f32 v87, v99, v38
	v_dual_add_f32 v66, v92, v38 :: v_dual_sub_f32 v91, v89, v103
	s_wait_loadcnt 0x7
	v_dual_add_f32 v38, v103, v89 :: v_dual_mul_f32 v89, v153, v118
	s_delay_alu instid0(VALU_DEP_2)
	v_dual_add_f32 v78, v104, v39 :: v_dual_add_f32 v37, v95, v66
	v_sub_f32_e32 v34, v64, v110
	v_dual_sub_f32 v39, v87, v102 :: v_dual_add_f32 v92, v102, v87
	s_wait_dscnt 0x1
	v_dual_sub_f32 v87, v66, v95 :: v_dual_mul_f32 v66, v155, v125
	s_wait_loadcnt 0x6
	v_dual_mul_f32 v93, v145, v122 :: v_dual_mul_f32 v94, v159, v115
	v_fma_f32 v95, v86, v152, -v89
	s_wait_dscnt 0x0
	v_mul_f32_e32 v89, v147, v127
	v_dual_mul_f32 v96, v158, v115 :: v_dual_mul_f32 v115, v144, v122
	v_fma_f32 v66, v81, v154, -v66
	v_fma_f32 v93, v90, v144, -v93
	;; [unrolled: 1-line block ×3, first 2 shown]
	v_mul_f32_e32 v117, v146, v127
	v_dual_fmac_f32 v115, v90, v145 :: v_dual_mul_f32 v90, v152, v118
	v_fma_f32 v98, v83, v146, -v89
	v_mul_f32_e32 v89, v157, v120
	v_dual_add_f32 v35, v108, v58 :: v_dual_sub_f32 v36, v78, v116
	v_sub_f32_e32 v97, v66, v95
	v_dual_fmac_f32 v96, v85, v159 :: v_dual_mul_f32 v85, v156, v120
	v_fmac_f32_e32 v90, v86, v153
	v_add_f32_e32 v86, v116, v78
	v_sub_f32_e32 v116, v93, v94
	v_dual_mul_f32 v118, v154, v125 :: v_dual_fmac_f32 v117, v83, v147
	v_fma_f32 v83, v88, v156, -v89
	s_clause 0x1
	global_load_b128 v[99:102], v[112:113], off offset:2688
	global_load_b128 v[103:106], v[112:113], off offset:2704
	v_dual_fmac_f32 v85, v88, v157 :: v_dual_fmac_f32 v118, v81, v155
	v_sub_f32_e32 v120, v98, v83
	ds_load_2addr_b32 v[112:113], v53 offset0:98 offset1:147
	v_dual_sub_f32 v89, v58, v108 :: v_dual_sub_f32 v58, v116, v97
	v_add_f32_e32 v93, v93, v94
	v_sub_f32_e32 v121, v97, v120
	v_add_f32_e32 v97, v97, v120
	v_dual_add_f32 v119, v115, v96 :: v_dual_add_f32 v78, v118, v90
	v_add_f32_e32 v81, v117, v85
	v_add_f32_e32 v83, v98, v83
	s_delay_alu instid0(VALU_DEP_4) | instskip(NEXT) | instid1(VALU_DEP_4)
	v_dual_add_f32 v97, v116, v97 :: v_dual_add_f32 v66, v66, v95
	v_sub_f32_e32 v123, v119, v78
	s_delay_alu instid0(VALU_DEP_4) | instskip(SKIP_2) | instid1(VALU_DEP_3)
	v_add_f32_e32 v88, v119, v81
	v_dual_sub_f32 v90, v118, v90 :: v_dual_sub_f32 v85, v117, v85
	v_add_f32_e32 v94, v93, v83
	v_dual_sub_f32 v117, v93, v66 :: v_dual_add_f32 v122, v78, v88
	v_sub_f32_e32 v108, v78, v81
	v_dual_mul_f32 v121, 0xbf08b237, v121 :: v_dual_add_f32 v88, v110, v64
	v_dual_sub_f32 v96, v115, v96 :: v_dual_sub_f32 v115, v90, v85
	s_delay_alu instid0(VALU_DEP_3) | instskip(SKIP_3) | instid1(VALU_DEP_3)
	v_mul_f32_e32 v108, 0x3d64c772, v108
	s_wait_dscnt 0x0
	v_add_f32_e32 v78, v113, v122
	v_dual_fmamk_f32 v64, v58, 0x3eae86e6, v121 :: v_dual_sub_f32 v81, v81, v119
	v_fmamk_f32 v110, v123, 0x3f4a47b2, v108
	s_delay_alu instid0(VALU_DEP_3) | instskip(NEXT) | instid1(VALU_DEP_3)
	v_fmamk_f32 v113, v122, 0xbf955555, v78
	v_fmac_f32_e32 v64, 0x3ee1c552, v97
	v_mul_f32_e32 v95, 0x3f4a47b2, v123
	v_mul_f32_e32 v123, 0xbf08b237, v115
	;; [unrolled: 1-line block ×3, first 2 shown]
	v_add_f32_e32 v110, v110, v113
	v_sub_f32_e32 v98, v66, v83
	v_add_f32_e32 v66, v66, v94
	v_fma_f32 v95, 0xbf3bfb3b, v81, -v95
	v_fma_f32 v81, 0x3f3bfb3b, v81, -v108
	v_dual_sub_f32 v122, v96, v90 :: v_dual_sub_f32 v83, v83, v93
	s_delay_alu instid0(VALU_DEP_4) | instskip(NEXT) | instid1(VALU_DEP_3)
	v_add_f32_e32 v77, v77, v66
	v_dual_mul_f32 v98, 0x3d64c772, v98 :: v_dual_add_f32 v81, v81, v113
	s_delay_alu instid0(VALU_DEP_2) | instskip(SKIP_2) | instid1(VALU_DEP_2)
	v_fmamk_f32 v66, v66, 0xbf955555, v77
	v_dual_add_f32 v90, v90, v85 :: v_dual_sub_f32 v85, v85, v96
	v_dual_add_f32 v94, v64, v110 :: v_dual_fmamk_f32 v125, v122, 0x3eae86e6, v123
	v_add_f32_e32 v90, v96, v90
	v_fma_f32 v96, 0xbf3bfb3b, v83, -v115
	v_fma_f32 v83, 0x3f3bfb3b, v83, -v98
	s_delay_alu instid0(VALU_DEP_3) | instskip(SKIP_4) | instid1(VALU_DEP_4)
	v_fmac_f32_e32 v125, 0x3ee1c552, v90
	v_fmamk_f32 v118, v117, 0x3f4a47b2, v98
	v_mul_f32_e32 v117, 0x3f5ff5aa, v85
	v_fma_f32 v85, 0x3f5ff5aa, v85, -v123
	v_sub_f32_e32 v120, v120, v116
	v_dual_add_f32 v128, v95, v113 :: v_dual_add_f32 v127, v118, v66
	v_add_f32_e32 v129, v96, v66
	s_delay_alu instid0(VALU_DEP_4)
	v_fmac_f32_e32 v85, 0x3ee1c552, v90
	v_fma_f32 v130, 0xbeae86e6, v122, -v117
	v_add_f32_e32 v66, v83, v66
	v_fma_f32 v108, 0x3f5ff5aa, v120, -v121
	ds_load_2addr_b32 v[117:118], v137 offset0:136 offset1:185
	s_wait_loadcnt 0x7
	v_mul_f32_e32 v123, v162, v126
	v_dual_fmac_f32 v130, 0x3ee1c552, v90 :: v_dual_sub_f32 v121, v66, v85
	v_mul_f32_e32 v116, 0x3f5ff5aa, v120
	v_fmac_f32_e32 v108, 0x3ee1c552, v97
	ds_load_2addr_b32 v[119:120], v138 offset0:100 offset1:149
	v_sub_f32_e32 v95, v129, v130
	v_fmac_f32_e32 v123, v82, v163
	v_fma_f32 v58, 0xbeae86e6, v58, -v116
	ds_load_2addr_b32 v[115:116], v139 offset0:54 offset1:103
	v_mul_f32_e32 v90, v163, v126
	v_dual_fmac_f32 v58, 0x3ee1c552, v97 :: v_dual_add_f32 v97, v85, v66
	s_wait_loadcnt 0x6
	v_dual_sub_f32 v98, v81, v108 :: v_dual_mul_f32 v85, v167, v114
	v_add_f32_e32 v122, v108, v81
	s_wait_loadcnt 0x5
	v_mul_f32_e32 v66, v171, v124
	v_dual_add_f32 v96, v58, v128 :: v_dual_sub_f32 v83, v128, v58
	v_fma_f32 v108, v84, v166, -v85
	v_sub_f32_e32 v93, v127, v125
	s_delay_alu instid0(VALU_DEP_4)
	v_fma_f32 v66, v80, v170, -v66
	s_wait_dscnt 0x1
	v_mul_f32_e32 v85, v165, v120
	v_mul_f32_e32 v120, v164, v120
	s_wait_loadcnt 0x4
	v_mul_f32_e32 v132, v45, v119
	s_wait_dscnt 0x0
	v_mul_f32_e32 v81, v169, v116
	v_fmac_f32_e32 v120, v73, v165
	v_fma_f32 v73, v73, v164, -v85
	v_sub_f32_e32 v85, v110, v64
	s_delay_alu instid0(VALU_DEP_4) | instskip(SKIP_3) | instid1(VALU_DEP_4)
	v_fma_f32 v81, v71, v168, -v81
	v_mul_f32_e32 v58, v161, v118
	v_mul_f32_e32 v118, v160, v118
	v_fma_f32 v139, v72, v44, -v132
	v_dual_mul_f32 v44, v44, v119 :: v_dual_sub_f32 v113, v66, v81
	s_delay_alu instid0(VALU_DEP_4) | instskip(NEXT) | instid1(VALU_DEP_4)
	v_fma_f32 v58, v75, v160, -v58
	v_dual_fmac_f32 v118, v75, v161 :: v_dual_mul_f32 v75, v168, v116
	v_mul_f32_e32 v114, v166, v114
	v_fma_f32 v90, v82, v162, -v90
	v_add_f32_e32 v82, v130, v129
	v_add_f32_e32 v66, v66, v81
	v_dual_fmac_f32 v75, v71, v169 :: v_dual_sub_f32 v126, v58, v108
	v_dual_fmac_f32 v114, v84, v167 :: v_dual_add_f32 v71, v123, v120
	v_add_f32_e32 v58, v58, v108
	v_fmac_f32_e32 v44, v72, v45
	s_delay_alu instid0(VALU_DEP_4) | instskip(SKIP_1) | instid1(VALU_DEP_1)
	v_sub_f32_e32 v64, v126, v113
	v_mul_f32_e32 v116, v170, v124
	v_fmac_f32_e32 v116, v80, v171
	s_delay_alu instid0(VALU_DEP_1) | instskip(SKIP_1) | instid1(VALU_DEP_2)
	v_add_f32_e32 v84, v116, v75
	v_sub_f32_e32 v80, v90, v73
	v_dual_add_f32 v73, v90, v73 :: v_dual_sub_f32 v110, v84, v71
	s_delay_alu instid0(VALU_DEP_2) | instskip(NEXT) | instid1(VALU_DEP_2)
	v_dual_sub_f32 v129, v113, v80 :: v_dual_add_f32 v124, v118, v114
	v_dual_add_f32 v130, v113, v80 :: v_dual_sub_f32 v81, v66, v73
	s_delay_alu instid0(VALU_DEP_2) | instskip(NEXT) | instid1(VALU_DEP_3)
	v_dual_sub_f32 v114, v118, v114 :: v_dual_mul_f32 v129, 0xbf08b237, v129
	v_add_f32_e32 v128, v124, v71
	s_delay_alu instid0(VALU_DEP_2) | instskip(NEXT) | instid1(VALU_DEP_2)
	v_fmamk_f32 v133, v64, 0x3eae86e6, v129
	v_add_f32_e32 v128, v84, v128
	s_delay_alu instid0(VALU_DEP_1)
	v_add_f32_e32 v113, v112, v128
	v_dual_sub_f32 v131, v124, v84 :: v_dual_add_f32 v84, v125, v127
	v_add_f32_e32 v127, v126, v130
	v_dual_sub_f32 v75, v116, v75 :: v_dual_sub_f32 v116, v123, v120
	v_sub_f32_e32 v125, v58, v66
	v_mul_f32_e32 v110, 0x3d64c772, v110
	v_mul_f32_e32 v120, 0x3d64c772, v81
	v_sub_f32_e32 v80, v80, v126
	v_sub_f32_e32 v118, v75, v116
	v_dual_sub_f32 v126, v114, v75 :: v_dual_add_f32 v75, v75, v116
	v_fmamk_f32 v112, v131, 0x3f4a47b2, v110
	v_fmamk_f32 v123, v125, 0x3f4a47b2, v120
	v_dual_fmamk_f32 v128, v128, 0xbf955555, v113 :: v_dual_sub_f32 v71, v71, v124
	v_mul_f32_e32 v90, 0x3f4a47b2, v131
	v_dual_add_f32 v131, v114, v75 :: v_dual_sub_f32 v114, v116, v114
	s_delay_alu instid0(VALU_DEP_3)
	v_dual_fmac_f32 v133, 0x3ee1c552, v127 :: v_dual_add_f32 v108, v112, v128
	v_add_f32_e32 v112, v58, v73
	v_mul_f32_e32 v118, 0xbf08b237, v118
	v_sub_f32_e32 v58, v73, v58
	v_mul_f32_e32 v73, 0x3f5ff5aa, v114
	v_fma_f32 v90, 0xbf3bfb3b, v71, -v90
	v_fma_f32 v71, 0x3f3bfb3b, v71, -v110
	v_fmamk_f32 v137, v126, 0x3eae86e6, v118
	v_fma_f32 v110, 0x3f5ff5aa, v80, -v129
	v_fma_f32 v73, 0xbeae86e6, v126, -v73
	s_wait_loadcnt 0x2
	v_mul_f32_e32 v129, v41, v115
	v_mul_f32_e32 v125, 0x3f4a47b2, v125
	v_fmac_f32_e32 v137, 0x3ee1c552, v131
	v_add_f32_e32 v71, v71, v128
	v_dual_fmac_f32 v73, 0x3ee1c552, v131 :: v_dual_add_f32 v66, v66, v112
	s_delay_alu instid0(VALU_DEP_4)
	v_fma_f32 v116, 0xbf3bfb3b, v58, -v125
	ds_load_2addr_b32 v[125:126], v136 offset0:10 offset1:59
	v_fmac_f32_e32 v110, 0x3ee1c552, v127
	v_fma_f32 v114, 0x3f5ff5aa, v114, -v118
	v_add_f32_e32 v112, v76, v66
	v_mul_f32_e32 v118, v49, v117
	s_delay_alu instid0(VALU_DEP_4) | instskip(SKIP_1) | instid1(VALU_DEP_4)
	v_dual_add_f32 v81, v133, v108 :: v_dual_sub_f32 v130, v71, v110
	v_add_f32_e32 v132, v110, v71
	v_fmamk_f32 v66, v66, 0xbf955555, v112
	v_add_f32_e32 v90, v90, v128
	s_delay_alu instid0(VALU_DEP_2)
	v_add_f32_e32 v138, v123, v66
	ds_load_2addr_b32 v[123:124], v134 offset0:174 offset1:223
	v_add_f32_e32 v116, v116, v66
	s_wait_dscnt 0x1
	v_mul_f32_e32 v110, v46, v126
	v_mul_f32_e32 v134, v47, v126
	s_delay_alu instid0(VALU_DEP_2) | instskip(SKIP_3) | instid1(VALU_DEP_2)
	v_fmac_f32_e32 v110, v69, v47
	s_wait_dscnt 0x0
	v_dual_fmac_f32 v114, 0x3ee1c552, v131 :: v_dual_mul_f32 v131, v51, v124
	v_fma_f32 v58, 0x3f3bfb3b, v58, -v120
	v_fma_f32 v136, v63, v50, -v131
	s_delay_alu instid0(VALU_DEP_2)
	v_add_f32_e32 v58, v58, v66
	v_fma_f32 v66, v74, v48, -v118
	v_fma_f32 v118, v69, v46, -v134
	v_mul_f32_e32 v76, 0x3f5ff5aa, v80
	v_mul_f32_e32 v50, v50, v124
	v_sub_f32_e32 v131, v58, v114
	v_sub_f32_e32 v143, v136, v139
	;; [unrolled: 1-line block ×3, first 2 shown]
	v_fma_f32 v64, 0xbeae86e6, v64, -v76
	ds_load_2addr_b32 v[75:76], v135 offset0:92 offset1:141
	v_fma_f32 v135, v70, v40, -v129
	v_fmac_f32_e32 v50, v63, v51
	v_add_f32_e32 v66, v66, v118
	v_fmac_f32_e32 v64, 0x3ee1c552, v127
	v_add_f32_e32 v72, v136, v139
	s_delay_alu instid0(VALU_DEP_2)
	v_add_f32_e32 v128, v64, v90
	v_sub_f32_e32 v46, v90, v64
	v_mul_f32_e32 v90, v48, v117
	ds_load_2addr_b32 v[47:48], v53 offset1:49
	v_add_f32_e32 v53, v50, v44
	v_sub_f32_e32 v44, v50, v44
	v_dual_fmac_f32 v90, v74, v49 :: v_dual_mul_f32 v49, v40, v115
	v_add_f32_e32 v74, v66, v72
	s_wait_dscnt 0x1
	s_delay_alu instid0(VALU_DEP_2) | instskip(NEXT) | instid1(VALU_DEP_3)
	v_dual_mul_f32 v120, v43, v76 :: v_dual_add_f32 v51, v90, v110
	v_fmac_f32_e32 v49, v70, v41
	v_add_f32_e32 v129, v114, v58
	v_sub_f32_e32 v41, v108, v133
	s_delay_alu instid0(VALU_DEP_4) | instskip(SKIP_1) | instid1(VALU_DEP_2)
	v_fma_f32 v120, v61, v42, -v120
	v_dual_mul_f32 v42, v42, v76 :: v_dual_add_f32 v63, v51, v53
	v_sub_f32_e32 v134, v120, v135
	s_delay_alu instid0(VALU_DEP_2) | instskip(NEXT) | instid1(VALU_DEP_2)
	v_fmac_f32_e32 v42, v61, v43
	v_sub_f32_e32 v58, v134, v143
	s_delay_alu instid0(VALU_DEP_2) | instskip(SKIP_1) | instid1(VALU_DEP_3)
	v_dual_add_f32 v43, v42, v49 :: v_dual_sub_f32 v64, v71, v134
	v_sub_f32_e32 v114, v42, v49
	v_mul_f32_e32 v58, 0xbf08b237, v58
	s_delay_alu instid0(VALU_DEP_3)
	v_sub_f32_e32 v70, v43, v53
	v_add_f32_e32 v63, v43, v63
	v_sub_f32_e32 v127, v116, v73
	v_add_f32_e32 v45, v73, v116
	v_dual_fmamk_f32 v69, v64, 0x3eae86e6, v58 :: v_dual_sub_f32 v80, v138, v137
	v_dual_sub_f32 v73, v51, v43 :: v_dual_mul_f32 v70, 0x3d64c772, v70
	s_wait_dscnt 0x0
	v_add_f32_e32 v43, v48, v63
	v_dual_add_f32 v48, v120, v135 :: v_dual_sub_f32 v49, v114, v44
	s_delay_alu instid0(VALU_DEP_3) | instskip(NEXT) | instid1(VALU_DEP_2)
	v_dual_mul_f32 v76, 0x3f4a47b2, v73 :: v_dual_fmamk_f32 v73, v73, 0x3f4a47b2, v70
	v_dual_fmamk_f32 v63, v63, 0xbf955555, v43 :: v_dual_sub_f32 v108, v48, v72
	v_sub_f32_e32 v51, v53, v51
	v_sub_f32_e32 v53, v72, v66
	s_delay_alu instid0(VALU_DEP_3) | instskip(NEXT) | instid1(VALU_DEP_4)
	v_dual_add_f32 v73, v73, v63 :: v_dual_add_f32 v74, v48, v74
	v_mul_f32_e32 v50, 0x3d64c772, v108
	v_sub_f32_e32 v48, v66, v48
	s_delay_alu instid0(VALU_DEP_3) | instskip(SKIP_1) | instid1(VALU_DEP_3)
	v_add_f32_e32 v42, v57, v74
	v_dual_sub_f32 v57, v90, v110 :: v_dual_mul_f32 v110, 0xbf08b237, v49
	v_fmamk_f32 v90, v48, 0x3f4a47b2, v50
	v_mul_f32_e32 v48, 0x3f4a47b2, v48
	s_delay_alu instid0(VALU_DEP_4) | instskip(NEXT) | instid1(VALU_DEP_4)
	v_fmamk_f32 v74, v74, 0xbf955555, v42
	v_sub_f32_e32 v108, v57, v114
	v_add_f32_e32 v114, v114, v44
	v_sub_f32_e32 v44, v44, v57
	v_fma_f32 v48, 0xbf3bfb3b, v53, -v48
	v_fma_f32 v50, 0x3f3bfb3b, v53, -v50
	v_fmamk_f32 v115, v108, 0x3eae86e6, v110
	s_delay_alu instid0(VALU_DEP_4) | instskip(NEXT) | instid1(VALU_DEP_4)
	v_dual_add_f32 v57, v57, v114 :: v_dual_mul_f32 v72, 0x3f5ff5aa, v44
	v_add_f32_e32 v114, v48, v74
	v_fma_f32 v48, 0x3f3bfb3b, v51, -v70
	v_fma_f32 v44, 0x3f5ff5aa, v44, -v110
	s_delay_alu instid0(VALU_DEP_4) | instskip(SKIP_1) | instid1(VALU_DEP_4)
	v_fmac_f32_e32 v115, 0x3ee1c552, v57
	v_fma_f32 v72, 0xbeae86e6, v108, -v72
	v_dual_mul_f32 v108, v26, v125 :: v_dual_add_f32 v53, v48, v63
	s_delay_alu instid0(VALU_DEP_4) | instskip(SKIP_1) | instid1(VALU_DEP_4)
	v_fmac_f32_e32 v44, 0x3ee1c552, v57
	v_mul_f32_e32 v70, v27, v125
	v_fmac_f32_e32 v72, 0x3ee1c552, v57
	s_delay_alu instid0(VALU_DEP_4) | instskip(SKIP_1) | instid1(VALU_DEP_4)
	v_fmac_f32_e32 v108, v68, v27
	v_add_f32_e32 v40, v134, v143
	v_fma_f32 v70, v68, v26, -v70
	s_delay_alu instid0(VALU_DEP_2) | instskip(SKIP_1) | instid1(VALU_DEP_2)
	v_dual_mul_f32 v68, v24, v109 :: v_dual_add_f32 v61, v71, v40
	v_dual_sub_f32 v71, v143, v71 :: v_dual_add_f32 v40, v137, v138
	v_fmac_f32_e32 v68, v67, v25
	s_delay_alu instid0(VALU_DEP_3) | instskip(NEXT) | instid1(VALU_DEP_1)
	v_fmac_f32_e32 v69, 0x3ee1c552, v61
	v_dual_mul_f32 v116, 0x3f5ff5aa, v71 :: v_dual_add_f32 v49, v69, v73
	s_delay_alu instid0(VALU_DEP_1) | instskip(SKIP_1) | instid1(VALU_DEP_2)
	v_fma_f32 v66, 0xbeae86e6, v64, -v116
	v_fma_f32 v64, 0xbf3bfb3b, v51, -v76
	v_fmac_f32_e32 v66, 0x3ee1c552, v61
	s_delay_alu instid0(VALU_DEP_2) | instskip(NEXT) | instid1(VALU_DEP_1)
	v_add_f32_e32 v76, v64, v63
	v_add_f32_e32 v51, v66, v76
	v_fma_f32 v64, 0x3f5ff5aa, v71, -v58
	s_wait_loadcnt 0x0
	s_delay_alu instid0(VALU_DEP_1) | instskip(NEXT) | instid1(VALU_DEP_1)
	v_dual_mul_f32 v71, v104, v107 :: v_dual_fmac_f32 v64, 0x3ee1c552, v61
	v_dual_add_f32 v61, v50, v74 :: v_dual_sub_f32 v58, v53, v64
	s_delay_alu instid0(VALU_DEP_1)
	v_add_f32_e32 v57, v44, v61
	v_add_f32_e32 v64, v64, v53
	v_mul_f32_e32 v53, v100, v111
	v_sub_f32_e32 v63, v61, v44
	v_sub_f32_e32 v61, v76, v66
	v_fma_f32 v66, v59, v103, -v71
	v_mul_f32_e32 v71, v102, v123
	v_fma_f32 v53, v65, v99, -v53
	v_mul_f32_e32 v99, v99, v111
	v_mul_f32_e32 v44, v106, v75
	;; [unrolled: 1-line block ×3, first 2 shown]
	v_fma_f32 v71, v62, v101, -v71
	v_mul_f32_e32 v101, v101, v123
	v_fmac_f32_e32 v99, v65, v100
	v_mul_f32_e32 v65, v103, v107
	v_mul_f32_e32 v75, v105, v75
	v_fma_f32 v76, v67, v24, -v76
	v_fmac_f32_e32 v101, v62, v102
	v_add_f32_e32 v67, v99, v108
	v_fmac_f32_e32 v65, v59, v104
	v_fmac_f32_e32 v75, v60, v106
	v_fma_f32 v44, v60, v105, -v44
	v_add_f32_e32 v59, v101, v68
	v_dual_sub_f32 v25, v73, v69 :: v_dual_sub_f32 v62, v71, v76
	s_delay_alu instid0(VALU_DEP_3) | instskip(NEXT) | instid1(VALU_DEP_3)
	v_dual_add_f32 v27, v75, v65 :: v_dual_sub_f32 v26, v44, v66
	v_add_f32_e32 v100, v67, v59
	v_dual_sub_f32 v65, v75, v65 :: v_dual_add_f32 v90, v90, v74
	s_delay_alu instid0(VALU_DEP_3) | instskip(NEXT) | instid1(VALU_DEP_3)
	v_dual_sub_f32 v74, v53, v70 :: v_dual_sub_f32 v69, v27, v59
	v_add_f32_e32 v73, v27, v100
	v_sub_f32_e32 v100, v67, v27
	v_dual_sub_f32 v24, v26, v62 :: v_dual_sub_f32 v59, v59, v67
	s_delay_alu instid0(VALU_DEP_3) | instskip(SKIP_3) | instid1(VALU_DEP_4)
	v_dual_add_f32 v60, v72, v114 :: v_dual_add_f32 v27, v47, v73
	v_mul_f32_e32 v69, 0x3d64c772, v69
	v_add_f32_e32 v47, v53, v70
	v_dual_add_f32 v53, v71, v76 :: v_dual_add_f32 v44, v44, v66
	v_dual_fmamk_f32 v71, v73, 0xbf955555, v27 :: v_dual_sub_f32 v50, v114, v72
	v_sub_f32_e32 v72, v74, v26
	v_add_f32_e32 v26, v26, v62
	s_delay_alu instid0(VALU_DEP_4) | instskip(SKIP_2) | instid1(VALU_DEP_4)
	v_dual_add_f32 v66, v47, v53 :: v_dual_mul_f32 v73, 0x3f4a47b2, v100
	v_sub_f32_e32 v68, v101, v68
	v_mul_f32_e32 v102, 0xbf08b237, v24
	v_add_f32_e32 v70, v74, v26
	v_fmamk_f32 v26, v100, 0x3f4a47b2, v69
	v_add_f32_e32 v100, v44, v66
	v_sub_f32_e32 v62, v62, v74
	s_delay_alu instid0(VALU_DEP_3) | instskip(SKIP_2) | instid1(VALU_DEP_2)
	v_add_f32_e32 v76, v26, v71
	v_sub_f32_e32 v26, v44, v53
	v_dual_sub_f32 v44, v47, v44 :: v_dual_sub_f32 v47, v53, v47
	v_dual_mul_f32 v75, 0x3d64c772, v26 :: v_dual_add_f32 v26, v56, v100
	v_sub_f32_e32 v56, v99, v108
	v_sub_f32_e32 v99, v65, v68
	s_delay_alu instid0(VALU_DEP_3) | instskip(NEXT) | instid1(VALU_DEP_3)
	v_dual_fmamk_f32 v101, v44, 0x3f4a47b2, v75 :: v_dual_mul_f32 v44, 0x3f4a47b2, v44
	v_sub_f32_e32 v103, v56, v65
	v_add_f32_e32 v65, v65, v68
	v_sub_f32_e32 v53, v68, v56
	v_dual_mul_f32 v99, 0xbf08b237, v99 :: v_dual_add_f32 v24, v115, v90
	v_fmamk_f32 v100, v100, 0xbf955555, v26
	s_delay_alu instid0(VALU_DEP_4)
	v_add_f32_e32 v74, v56, v65
	v_fma_f32 v56, 0xbf3bfb3b, v59, -v73
	v_mul_f32_e32 v65, 0x3f5ff5aa, v62
	v_mul_f32_e32 v67, 0x3f5ff5aa, v53
	v_fmamk_f32 v104, v103, 0x3eae86e6, v99
	v_fma_f32 v44, 0xbf3bfb3b, v47, -v44
	v_add_f32_e32 v73, v56, v71
	v_fma_f32 v56, 0x3f3bfb3b, v59, -v69
	v_fma_f32 v59, 0x3f5ff5aa, v62, -v102
	v_fma_f32 v62, 0x3f5ff5aa, v53, -v99
	v_mov_b32_e32 v53, v79
	v_fma_f32 v103, 0xbeae86e6, v103, -v67
	v_sub_f32_e32 v48, v90, v115
	v_fmamk_f32 v90, v72, 0x3eae86e6, v102
	v_fma_f32 v72, 0xbeae86e6, v72, -v65
	s_delay_alu instid0(VALU_DEP_4) | instskip(SKIP_4) | instid1(VALU_DEP_4)
	v_dual_add_f32 v56, v56, v71 :: v_dual_fmac_f32 v103, 0x3ee1c552, v74
	v_fmac_f32_e32 v59, 0x3ee1c552, v70
	v_lshlrev_b64_e32 v[52:53], 3, v[52:53]
	v_fmac_f32_e32 v90, 0x3ee1c552, v70
	v_dual_fmac_f32 v72, 0x3ee1c552, v70 :: v_dual_add_f32 v101, v101, v100
	v_sub_f32_e32 v70, v56, v59
	v_add_f32_e32 v56, v59, v56
	s_wait_alu 0xfffd
	v_add_co_ci_u32_e32 v59, vcc_lo, s9, v55, vcc_lo
	v_add_co_u32 v52, vcc_lo, v54, v52
	v_fmac_f32_e32 v104, 0x3ee1c552, v74
	s_wait_alu 0xfffd
	s_delay_alu instid0(VALU_DEP_3)
	v_add_co_ci_u32_e32 v53, vcc_lo, v59, v53, vcc_lo
	s_clause 0x3
	global_store_b64 v[52:53], v[26:27], off
	global_store_b64 v[52:53], v[42:43], off offset:392
	global_store_b64 v[52:53], v[112:113], off offset:784
	;; [unrolled: 1-line block ×3, first 2 shown]
	v_mul_hi_u32 v26, 0xbf112a8b, v140
	v_add_f32_e32 v44, v44, v100
	v_fmac_f32_e32 v62, 0x3ee1c552, v74
	v_add_f32_e32 v68, v72, v73
	v_sub_f32_e32 v72, v73, v72
	v_sub_f32_e32 v74, v76, v90
	v_add_f32_e32 v73, v104, v101
	v_add_f32_e32 v71, v103, v44
	s_clause 0x7
	global_store_b64 v[52:53], v[73:74], off offset:2744
	global_store_b64 v[52:53], v[24:25], off offset:3136
	;; [unrolled: 1-line block ×8, first 2 shown]
	v_lshrrev_b32_e32 v24, 8, v26
	v_mul_hi_u32 v26, 0xbf112a8b, v141
	v_mul_hi_u32 v27, 0xbf112a8b, v142
	v_fma_f32 v47, 0x3f3bfb3b, v47, -v75
	v_add_f32_e32 v66, v90, v76
	v_mul_u32_u24_e32 v78, 0x80a, v24
	v_sub_f32_e32 v65, v101, v104
	v_sub_f32_e32 v67, v44, v103
	v_add_f32_e32 v47, v47, v100
	v_lshrrev_b32_e32 v26, 8, v26
	v_lshlrev_b64_e32 v[24:25], 3, v[78:79]
	v_lshrrev_b32_e32 v40, 8, v27
	s_delay_alu instid0(VALU_DEP_4) | instskip(NEXT) | instid1(VALU_DEP_4)
	v_add_f32_e32 v69, v62, v47
	v_mul_u32_u24_e32 v78, 0x80a, v26
	v_sub_f32_e32 v55, v47, v62
	v_add_co_u32 v24, vcc_lo, v52, v24
	s_wait_alu 0xfffd
	v_add_co_ci_u32_e32 v25, vcc_lo, v53, v25, vcc_lo
	v_lshlrev_b64_e32 v[26:27], 3, v[78:79]
	v_mul_u32_u24_e32 v78, 0x80a, v40
	s_clause 0x16
	global_store_b64 v[52:53], v[55:56], off offset:8232
	global_store_b64 v[52:53], v[63:64], off offset:8624
	;; [unrolled: 1-line block ×23, first 2 shown]
	v_lshlrev_b64_e32 v[16:17], 3, v[78:79]
	v_add_co_u32 v24, vcc_lo, v52, v26
	s_wait_alu 0xfffd
	v_add_co_ci_u32_e32 v25, vcc_lo, v53, v27, vcc_lo
	s_delay_alu instid0(VALU_DEP_3)
	v_add_co_u32 v16, vcc_lo, v52, v16
	s_wait_alu 0xfffd
	v_add_co_ci_u32_e32 v17, vcc_lo, v53, v17, vcc_lo
	s_clause 0xd
	global_store_b64 v[24:25], v[2:3], off offset:1960
	global_store_b64 v[24:25], v[32:33], off offset:4704
	;; [unrolled: 1-line block ×14, first 2 shown]
.LBB0_13:
	s_nop 0
	s_sendmsg sendmsg(MSG_DEALLOC_VGPRS)
	s_endpgm
	.section	.rodata,"a",@progbits
	.p2align	6, 0x0
	.amdhsa_kernel fft_rtc_fwd_len2401_factors_7_7_7_7_wgs_49_tpt_49_halfLds_sp_ip_CI_unitstride_sbrr_dirReg
		.amdhsa_group_segment_fixed_size 0
		.amdhsa_private_segment_fixed_size 0
		.amdhsa_kernarg_size 88
		.amdhsa_user_sgpr_count 2
		.amdhsa_user_sgpr_dispatch_ptr 0
		.amdhsa_user_sgpr_queue_ptr 0
		.amdhsa_user_sgpr_kernarg_segment_ptr 1
		.amdhsa_user_sgpr_dispatch_id 0
		.amdhsa_user_sgpr_private_segment_size 0
		.amdhsa_wavefront_size32 1
		.amdhsa_uses_dynamic_stack 0
		.amdhsa_enable_private_segment 0
		.amdhsa_system_sgpr_workgroup_id_x 1
		.amdhsa_system_sgpr_workgroup_id_y 0
		.amdhsa_system_sgpr_workgroup_id_z 0
		.amdhsa_system_sgpr_workgroup_info 0
		.amdhsa_system_vgpr_workitem_id 0
		.amdhsa_next_free_vgpr 209
		.amdhsa_next_free_sgpr 32
		.amdhsa_reserve_vcc 1
		.amdhsa_float_round_mode_32 0
		.amdhsa_float_round_mode_16_64 0
		.amdhsa_float_denorm_mode_32 3
		.amdhsa_float_denorm_mode_16_64 3
		.amdhsa_fp16_overflow 0
		.amdhsa_workgroup_processor_mode 1
		.amdhsa_memory_ordered 1
		.amdhsa_forward_progress 0
		.amdhsa_round_robin_scheduling 0
		.amdhsa_exception_fp_ieee_invalid_op 0
		.amdhsa_exception_fp_denorm_src 0
		.amdhsa_exception_fp_ieee_div_zero 0
		.amdhsa_exception_fp_ieee_overflow 0
		.amdhsa_exception_fp_ieee_underflow 0
		.amdhsa_exception_fp_ieee_inexact 0
		.amdhsa_exception_int_div_zero 0
	.end_amdhsa_kernel
	.text
.Lfunc_end0:
	.size	fft_rtc_fwd_len2401_factors_7_7_7_7_wgs_49_tpt_49_halfLds_sp_ip_CI_unitstride_sbrr_dirReg, .Lfunc_end0-fft_rtc_fwd_len2401_factors_7_7_7_7_wgs_49_tpt_49_halfLds_sp_ip_CI_unitstride_sbrr_dirReg
                                        ; -- End function
	.section	.AMDGPU.csdata,"",@progbits
; Kernel info:
; codeLenInByte = 25668
; NumSgprs: 34
; NumVgprs: 209
; ScratchSize: 0
; MemoryBound: 0
; FloatMode: 240
; IeeeMode: 1
; LDSByteSize: 0 bytes/workgroup (compile time only)
; SGPRBlocks: 4
; VGPRBlocks: 26
; NumSGPRsForWavesPerEU: 34
; NumVGPRsForWavesPerEU: 209
; Occupancy: 7
; WaveLimiterHint : 1
; COMPUTE_PGM_RSRC2:SCRATCH_EN: 0
; COMPUTE_PGM_RSRC2:USER_SGPR: 2
; COMPUTE_PGM_RSRC2:TRAP_HANDLER: 0
; COMPUTE_PGM_RSRC2:TGID_X_EN: 1
; COMPUTE_PGM_RSRC2:TGID_Y_EN: 0
; COMPUTE_PGM_RSRC2:TGID_Z_EN: 0
; COMPUTE_PGM_RSRC2:TIDIG_COMP_CNT: 0
	.text
	.p2alignl 7, 3214868480
	.fill 96, 4, 3214868480
	.type	__hip_cuid_5566cfe3c70cd530,@object ; @__hip_cuid_5566cfe3c70cd530
	.section	.bss,"aw",@nobits
	.globl	__hip_cuid_5566cfe3c70cd530
__hip_cuid_5566cfe3c70cd530:
	.byte	0                               ; 0x0
	.size	__hip_cuid_5566cfe3c70cd530, 1

	.ident	"AMD clang version 19.0.0git (https://github.com/RadeonOpenCompute/llvm-project roc-6.4.0 25133 c7fe45cf4b819c5991fe208aaa96edf142730f1d)"
	.section	".note.GNU-stack","",@progbits
	.addrsig
	.addrsig_sym __hip_cuid_5566cfe3c70cd530
	.amdgpu_metadata
---
amdhsa.kernels:
  - .args:
      - .actual_access:  read_only
        .address_space:  global
        .offset:         0
        .size:           8
        .value_kind:     global_buffer
      - .offset:         8
        .size:           8
        .value_kind:     by_value
      - .actual_access:  read_only
        .address_space:  global
        .offset:         16
        .size:           8
        .value_kind:     global_buffer
      - .actual_access:  read_only
        .address_space:  global
        .offset:         24
        .size:           8
        .value_kind:     global_buffer
      - .offset:         32
        .size:           8
        .value_kind:     by_value
      - .actual_access:  read_only
        .address_space:  global
        .offset:         40
        .size:           8
        .value_kind:     global_buffer
      - .actual_access:  read_only
        .address_space:  global
        .offset:         48
        .size:           8
        .value_kind:     global_buffer
      - .offset:         56
        .size:           4
        .value_kind:     by_value
      - .actual_access:  read_only
        .address_space:  global
        .offset:         64
        .size:           8
        .value_kind:     global_buffer
      - .actual_access:  read_only
        .address_space:  global
        .offset:         72
        .size:           8
        .value_kind:     global_buffer
      - .address_space:  global
        .offset:         80
        .size:           8
        .value_kind:     global_buffer
    .group_segment_fixed_size: 0
    .kernarg_segment_align: 8
    .kernarg_segment_size: 88
    .language:       OpenCL C
    .language_version:
      - 2
      - 0
    .max_flat_workgroup_size: 49
    .name:           fft_rtc_fwd_len2401_factors_7_7_7_7_wgs_49_tpt_49_halfLds_sp_ip_CI_unitstride_sbrr_dirReg
    .private_segment_fixed_size: 0
    .sgpr_count:     34
    .sgpr_spill_count: 0
    .symbol:         fft_rtc_fwd_len2401_factors_7_7_7_7_wgs_49_tpt_49_halfLds_sp_ip_CI_unitstride_sbrr_dirReg.kd
    .uniform_work_group_size: 1
    .uses_dynamic_stack: false
    .vgpr_count:     209
    .vgpr_spill_count: 0
    .wavefront_size: 32
    .workgroup_processor_mode: 1
amdhsa.target:   amdgcn-amd-amdhsa--gfx1201
amdhsa.version:
  - 1
  - 2
...

	.end_amdgpu_metadata
